;; amdgpu-corpus repo=ROCm/rocFFT kind=compiled arch=gfx1100 opt=O3
	.text
	.amdgcn_target "amdgcn-amd-amdhsa--gfx1100"
	.amdhsa_code_object_version 6
	.protected	bluestein_single_fwd_len1547_dim1_dp_op_CI_CI ; -- Begin function bluestein_single_fwd_len1547_dim1_dp_op_CI_CI
	.globl	bluestein_single_fwd_len1547_dim1_dp_op_CI_CI
	.p2align	8
	.type	bluestein_single_fwd_len1547_dim1_dp_op_CI_CI,@function
bluestein_single_fwd_len1547_dim1_dp_op_CI_CI: ; @bluestein_single_fwd_len1547_dim1_dp_op_CI_CI
; %bb.0:
	s_load_b128 s[4:7], s[0:1], 0x28
	v_mul_u32_u24_e32 v1, 0x227, v0
	s_mov_b32 s2, exec_lo
	v_mov_b32_e32 v4, 0
	s_delay_alu instid0(VALU_DEP_2) | instskip(NEXT) | instid1(VALU_DEP_1)
	v_lshrrev_b32_e32 v1, 16, v1
	v_add_nc_u32_e32 v3, s15, v1
	s_delay_alu instid0(VALU_DEP_1)
	v_mov_b32_e32 v2, v3
	scratch_store_b64 off, v[2:3], off      ; 8-byte Folded Spill
	s_waitcnt lgkmcnt(0)
	v_cmpx_gt_u64_e64 s[4:5], v[3:4]
	s_cbranch_execz .LBB0_23
; %bb.1:
	s_clause 0x1
	s_load_b64 s[12:13], s[0:1], 0x0
	s_load_b64 s[14:15], s[0:1], 0x38
	v_mul_lo_u16 v1, 0x77, v1
	s_delay_alu instid0(VALU_DEP_1) | instskip(NEXT) | instid1(VALU_DEP_1)
	v_sub_nc_u16 v0, v0, v1
	v_and_b32_e32 v1, 0xffff, v0
	v_cmp_gt_u16_e32 vcc_lo, 0x5b, v0
	s_delay_alu instid0(VALU_DEP_2)
	v_lshlrev_b32_e32 v255, 4, v1
	scratch_store_b32 off, v1, off offset:8 ; 4-byte Folded Spill
	s_and_saveexec_b32 s3, vcc_lo
	s_cbranch_execz .LBB0_3
; %bb.2:
	s_load_b64 s[4:5], s[0:1], 0x18
	s_waitcnt lgkmcnt(0)
	v_add_co_u32 v14, s2, s12, v255
	s_delay_alu instid0(VALU_DEP_1) | instskip(NEXT) | instid1(VALU_DEP_2)
	v_add_co_ci_u32_e64 v15, null, s13, 0, s2
	v_add_co_u32 v20, s2, 0x1000, v14
	s_delay_alu instid0(VALU_DEP_1) | instskip(SKIP_1) | instid1(VALU_DEP_1)
	v_add_co_ci_u32_e64 v21, s2, 0, v15, s2
	v_add_co_u32 v32, s2, 0x2000, v14
	v_add_co_ci_u32_e64 v33, s2, 0, v15, s2
	v_add_co_u32 v46, s2, 0x3000, v14
	s_delay_alu instid0(VALU_DEP_1)
	v_add_co_ci_u32_e64 v47, s2, 0, v15, s2
	v_add_co_u32 v56, s2, 0x4000, v14
	s_load_b128 s[8:11], s[4:5], 0x0
	s_clause 0x2
	global_load_b128 v[0:3], v255, s[12:13]
	global_load_b128 v[4:7], v255, s[12:13] offset:1456
	global_load_b128 v[8:11], v255, s[12:13] offset:2912
	s_clause 0x1
	scratch_load_b64 v[12:13], off, off
	scratch_load_b32 v17, off, off offset:8
	v_add_co_ci_u32_e64 v57, s2, 0, v15, s2
	v_add_co_u32 v128, s2, 0x5000, v14
	s_delay_alu instid0(VALU_DEP_1) | instskip(SKIP_3) | instid1(SALU_CYCLE_1)
	v_add_co_ci_u32_e64 v129, s2, 0, v15, s2
	s_waitcnt lgkmcnt(0)
	s_mul_i32 s4, s9, 0x5b0
	s_mul_hi_u32 s5, s8, 0x5b0
	s_add_i32 s5, s5, s4
	s_waitcnt vmcnt(0)
	v_mad_u64_u32 v[44:45], null, s8, v17, 0
	s_delay_alu instid0(VALU_DEP_1) | instskip(NEXT) | instid1(VALU_DEP_1)
	v_dual_mov_b32 v16, v12 :: v_dual_mov_b32 v13, v45
	v_mad_u64_u32 v[36:37], null, s10, v16, 0
	s_delay_alu instid0(VALU_DEP_2) | instskip(NEXT) | instid1(VALU_DEP_1)
	v_mad_u64_u32 v[38:39], null, s9, v17, v[13:14]
	v_dual_mov_b32 v12, v37 :: v_dual_mov_b32 v45, v38
	s_delay_alu instid0(VALU_DEP_1)
	v_mad_u64_u32 v[24:25], null, s11, v16, v[12:13]
	s_clause 0x2
	global_load_b128 v[12:15], v[20:21], off offset:272
	global_load_b128 v[16:19], v[20:21], off offset:1728
	;; [unrolled: 1-line block ×3, first 2 shown]
	v_lshlrev_b64 v[44:45], 4, v[44:45]
	v_mov_b32_e32 v37, v24
	s_clause 0x2
	global_load_b128 v[24:27], v[32:33], off offset:544
	global_load_b128 v[28:31], v[32:33], off offset:2000
	;; [unrolled: 1-line block ×3, first 2 shown]
	v_lshlrev_b64 v[48:49], 4, v[36:37]
	s_clause 0x1
	global_load_b128 v[36:39], v[46:47], off offset:816
	global_load_b128 v[40:43], v[46:47], off offset:2272
	v_add_co_u32 v48, s2, s6, v48
	s_delay_alu instid0(VALU_DEP_1) | instskip(SKIP_1) | instid1(VALU_DEP_2)
	v_add_co_ci_u32_e64 v49, s2, s7, v49, s2
	s_mul_i32 s6, s8, 0x5b0
	v_add_co_u32 v60, s2, v48, v44
	s_delay_alu instid0(VALU_DEP_1) | instskip(SKIP_2) | instid1(VALU_DEP_1)
	v_add_co_ci_u32_e64 v61, s2, v49, v45, s2
	global_load_b128 v[44:47], v[46:47], off offset:3728
	v_add_co_u32 v64, s2, v60, s6
	v_add_co_ci_u32_e64 v65, s2, s5, v61, s2
	s_clause 0x1
	global_load_b128 v[48:51], v[56:57], off offset:1088
	global_load_b128 v[52:55], v[56:57], off offset:2544
	v_add_co_u32 v68, s2, v64, s6
	s_delay_alu instid0(VALU_DEP_1) | instskip(SKIP_2) | instid1(VALU_DEP_1)
	v_add_co_ci_u32_e64 v69, s2, s5, v65, s2
	global_load_b128 v[56:59], v[56:57], off offset:4000
	v_add_co_u32 v72, s2, v68, s6
	v_add_co_ci_u32_e64 v73, s2, s5, v69, s2
	s_clause 0x1
	global_load_b128 v[60:63], v[60:61], off
	global_load_b128 v[64:67], v[64:65], off
	v_add_co_u32 v76, s2, v72, s6
	s_delay_alu instid0(VALU_DEP_1) | instskip(SKIP_4) | instid1(VALU_DEP_1)
	v_add_co_ci_u32_e64 v77, s2, s5, v73, s2
	s_clause 0x1
	global_load_b128 v[68:71], v[68:69], off
	global_load_b128 v[72:75], v[72:73], off
	v_add_co_u32 v80, s2, v76, s6
	v_add_co_ci_u32_e64 v81, s2, s5, v77, s2
	global_load_b128 v[76:79], v[76:77], off
	v_add_co_u32 v84, s2, v80, s6
	s_delay_alu instid0(VALU_DEP_1) | instskip(SKIP_2) | instid1(VALU_DEP_1)
	v_add_co_ci_u32_e64 v85, s2, s5, v81, s2
	global_load_b128 v[80:83], v[80:81], off
	v_add_co_u32 v88, s2, v84, s6
	v_add_co_ci_u32_e64 v89, s2, s5, v85, s2
	global_load_b128 v[84:87], v[84:85], off
	v_add_co_u32 v92, s2, v88, s6
	s_delay_alu instid0(VALU_DEP_1) | instskip(SKIP_2) | instid1(VALU_DEP_1)
	v_add_co_ci_u32_e64 v93, s2, s5, v89, s2
	;; [unrolled: 7-line block ×5, first 2 shown]
	global_load_b128 v[112:115], v[112:113], off
	v_add_co_u32 v120, s2, v116, s6
	v_add_co_ci_u32_e64 v121, s2, s5, v117, s2
	s_delay_alu instid0(VALU_DEP_2) | instskip(NEXT) | instid1(VALU_DEP_1)
	v_add_co_u32 v132, s2, v120, s6
	v_add_co_ci_u32_e64 v133, s2, s5, v121, s2
	global_load_b128 v[116:119], v[116:117], off
	global_load_b128 v[120:123], v[120:121], off
	s_clause 0x1
	global_load_b128 v[124:127], v[128:129], off offset:1360
	global_load_b128 v[128:131], v[128:129], off offset:2816
	global_load_b128 v[132:135], v[132:133], off
	s_waitcnt vmcnt(18)
	v_mul_f64 v[136:137], v[62:63], v[2:3]
	v_mul_f64 v[2:3], v[60:61], v[2:3]
	s_waitcnt vmcnt(17)
	v_mul_f64 v[138:139], v[66:67], v[6:7]
	v_mul_f64 v[6:7], v[64:65], v[6:7]
	;; [unrolled: 3-line block ×17, first 2 shown]
	v_fma_f64 v[58:59], v[60:61], v[0:1], v[136:137]
	v_fma_f64 v[60:61], v[62:63], v[0:1], -v[2:3]
	v_fma_f64 v[0:1], v[64:65], v[4:5], v[138:139]
	v_fma_f64 v[2:3], v[66:67], v[4:5], -v[6:7]
	;; [unrolled: 2-line block ×17, first 2 shown]
	ds_store_b128 v255, v[58:61]
	ds_store_b128 v255, v[0:3] offset:1456
	ds_store_b128 v255, v[4:7] offset:2912
	ds_store_b128 v255, v[8:11] offset:4368
	ds_store_b128 v255, v[12:15] offset:5824
	ds_store_b128 v255, v[16:19] offset:7280
	ds_store_b128 v255, v[20:23] offset:8736
	ds_store_b128 v255, v[24:27] offset:10192
	ds_store_b128 v255, v[28:31] offset:11648
	ds_store_b128 v255, v[32:35] offset:13104
	ds_store_b128 v255, v[36:39] offset:14560
	ds_store_b128 v255, v[40:43] offset:16016
	ds_store_b128 v255, v[44:47] offset:17472
	ds_store_b128 v255, v[48:51] offset:18928
	ds_store_b128 v255, v[52:55] offset:20384
	ds_store_b128 v255, v[62:65] offset:21840
	ds_store_b128 v255, v[66:69] offset:23296
.LBB0_3:
	s_or_b32 exec_lo, exec_lo, s3
	s_waitcnt lgkmcnt(0)
	s_waitcnt_vscnt null, 0x0
	s_barrier
	buffer_gl0_inv
                                        ; implicit-def: $vgpr12_vgpr13
                                        ; implicit-def: $vgpr40_vgpr41
                                        ; implicit-def: $vgpr44_vgpr45
                                        ; implicit-def: $vgpr48_vgpr49
                                        ; implicit-def: $vgpr52_vgpr53
                                        ; implicit-def: $vgpr56_vgpr57
                                        ; implicit-def: $vgpr60_vgpr61
                                        ; implicit-def: $vgpr68_vgpr69
                                        ; implicit-def: $vgpr72_vgpr73
                                        ; implicit-def: $vgpr76_vgpr77
                                        ; implicit-def: $vgpr64_vgpr65
                                        ; implicit-def: $vgpr36_vgpr37
                                        ; implicit-def: $vgpr32_vgpr33
                                        ; implicit-def: $vgpr28_vgpr29
                                        ; implicit-def: $vgpr24_vgpr25
                                        ; implicit-def: $vgpr20_vgpr21
                                        ; implicit-def: $vgpr16_vgpr17
	s_and_saveexec_b32 s2, vcc_lo
	s_cbranch_execz .LBB0_5
; %bb.4:
	ds_load_b128 v[12:15], v255
	ds_load_b128 v[40:43], v255 offset:1456
	ds_load_b128 v[44:47], v255 offset:2912
	;; [unrolled: 1-line block ×16, first 2 shown]
.LBB0_5:
	s_or_b32 exec_lo, exec_lo, s2
	s_waitcnt lgkmcnt(0)
	v_add_f64 v[2:3], v[42:43], -v[18:19]
	s_mov_b32 s38, 0x5d8e7cdc
	s_mov_b32 s39, 0xbfd71e95
	v_add_f64 v[112:113], v[40:41], v[16:17]
	v_add_f64 v[0:1], v[40:41], -v[16:17]
	v_add_f64 v[118:119], v[46:47], -v[22:23]
	s_clause 0x1
	s_load_b64 s[4:5], s[0:1], 0x20
	s_load_b64 s[2:3], s[0:1], 0x8
	s_mov_b32 s0, 0x370991
	s_mov_b32 s46, 0x2a9d6da3
	;; [unrolled: 1-line block ×4, first 2 shown]
	v_add_f64 v[114:115], v[42:43], v[18:19]
	v_add_f64 v[108:109], v[44:45], v[20:21]
	v_add_f64 v[116:117], v[44:45], -v[20:21]
	s_mov_b32 s6, 0x75d4884
	s_mov_b32 s7, 0x3fe7a5f6
	v_add_f64 v[110:111], v[46:47], v[22:23]
	s_mov_b32 s44, 0xeb564b22
	s_mov_b32 s45, 0xbfefdd0d
	s_mov_b32 s10, 0x3259b75e
	s_mov_b32 s11, 0x3fb79ee6
	s_mov_b32 s36, 0x7c9e640b
	s_mov_b32 s37, 0xbfeca52d
	s_mov_b32 s8, 0x2b2883cd
	s_mov_b32 s26, 0x6c9a05f6
	s_mov_b32 s9, 0x3fdc86fa
	s_mov_b32 s27, 0xbfe9895b
	s_mov_b32 s18, 0x6ed5f1bb
	s_mov_b32 s19, 0xbfe348c8
	s_mov_b32 s34, 0xacd6c6b4
	s_mov_b32 s35, 0xbfc7851a
	s_mov_b32 s22, 0x7faef3
	s_mov_b32 s23, 0xbfef7484
	s_mov_b32 s24, 0x923c349f
	s_mov_b32 s25, 0xbfeec746
	s_mov_b32 s16, 0xc61f0d01
	s_mov_b32 s30, 0x4363dd80
	s_mov_b32 s17, 0xbfd183b1
	v_mul_f64 v[4:5], v[2:3], s[38:39]
	v_mul_f64 v[8:9], v[2:3], s[46:47]
	;; [unrolled: 1-line block ×10, first 2 shown]
	s_mov_b32 s31, 0xbfe0d888
	s_mov_b32 s51, 0x3fe0d888
	;; [unrolled: 1-line block ×3, first 2 shown]
	v_mul_f64 v[122:123], v[116:117], s[46:47]
	v_mul_f64 v[90:91], v[0:1], s[24:25]
	s_mov_b32 s20, 0x910ea3b9
	s_mov_b32 s21, 0xbfeb34fa
	v_mul_f64 v[92:93], v[2:3], s[26:27]
	s_mov_b32 s49, 0x3feec746
	s_mov_b32 s48, s24
	v_mul_f64 v[94:95], v[0:1], s[26:27]
	v_mul_f64 v[96:97], v[2:3], s[30:31]
	s_mov_b32 s29, 0x3feca52d
	s_mov_b32 s28, s36
	v_mul_f64 v[100:101], v[0:1], s[30:31]
	v_mul_f64 v[2:3], v[2:3], s[34:35]
	s_mov_b32 s43, 0x3fd71e95
	s_mov_b32 s42, s38
	v_mul_f64 v[0:1], v[0:1], s[34:35]
	v_add_f64 v[144:145], v[48:49], v[24:25]
	v_add_f64 v[148:149], v[50:51], v[26:27]
	s_mov_b32 s41, 0x3fc7851a
	s_mov_b32 s40, s34
	v_add_f64 v[172:173], v[52:53], v[28:29]
	v_add_f64 v[176:177], v[54:55], v[30:31]
	s_mov_b32 s53, 0x3fe9895b
	s_mov_b32 s52, s26
	v_add_f64 v[201:202], v[56:57], v[32:33]
	scratch_store_b64 off, v[4:5], off offset:60 ; 8-byte Folded Spill
	v_fma_f64 v[4:5], v[112:113], s[0:1], v[4:5]
	scratch_store_b64 off, v[8:9], off offset:84 ; 8-byte Folded Spill
	v_fma_f64 v[8:9], v[112:113], s[6:7], v[8:9]
	scratch_store_b64 off, v[6:7], off offset:68 ; 8-byte Folded Spill
	v_fma_f64 v[6:7], v[114:115], s[0:1], -v[6:7]
	scratch_store_b64 off, v[120:121], off offset:236 ; 8-byte Folded Spill
	v_fma_f64 v[120:121], v[108:109], s[6:7], v[120:121]
	scratch_store_b64 off, v[10:11], off offset:100 ; 8-byte Folded Spill
	v_fma_f64 v[10:11], v[114:115], s[6:7], -v[10:11]
	s_clause 0x3
	scratch_store_b64 off, v[80:81], off offset:116
	scratch_store_b64 off, v[82:83], off offset:132
	;; [unrolled: 1-line block ×4, first 2 shown]
	v_fma_f64 v[80:81], v[112:113], s[8:9], v[80:81]
	v_fma_f64 v[82:83], v[114:115], s[8:9], -v[82:83]
	v_fma_f64 v[84:85], v[112:113], s[10:11], v[84:85]
	v_fma_f64 v[86:87], v[114:115], s[10:11], -v[86:87]
	s_clause 0x3
	scratch_store_b64 off, v[88:89], off offset:172
	scratch_store_b64 off, v[90:91], off offset:188
	;; [unrolled: 1-line block ×4, first 2 shown]
	v_fma_f64 v[88:89], v[112:113], s[16:17], v[88:89]
	v_fma_f64 v[90:91], v[114:115], s[16:17], -v[90:91]
	v_fma_f64 v[92:93], v[112:113], s[18:19], v[92:93]
	v_fma_f64 v[94:95], v[114:115], s[18:19], -v[94:95]
	v_fma_f64 v[98:99], v[112:113], s[20:21], -v[96:97]
	v_fma_f64 v[96:97], v[112:113], s[20:21], v[96:97]
	v_fma_f64 v[102:103], v[114:115], s[20:21], v[100:101]
	v_fma_f64 v[100:101], v[114:115], s[20:21], -v[100:101]
	v_fma_f64 v[104:105], v[112:113], s[22:23], -v[2:3]
	v_fma_f64 v[2:3], v[112:113], s[22:23], v[2:3]
	v_fma_f64 v[106:107], v[114:115], s[22:23], v[0:1]
	v_fma_f64 v[0:1], v[114:115], s[22:23], -v[0:1]
	v_add_f64 v[203:204], v[58:59], v[34:35]
	v_add_f64 v[229:230], v[60:61], v[36:37]
	v_add_f64 v[231:232], v[62:63], v[38:39]
	v_add_f64 v[152:153], v[70:71], -v[66:67]
	v_add_f64 v[198:199], v[72:73], -v[76:77]
	v_add_f64 v[4:5], v[12:13], v[4:5]
	v_add_f64 v[209:210], v[74:75], -v[78:79]
	v_add_f64 v[8:9], v[12:13], v[8:9]
	v_add_f64 v[6:7], v[14:15], v[6:7]
	v_add_f64 v[10:11], v[14:15], v[10:11]
	v_add_f64 v[80:81], v[12:13], v[80:81]
	v_add_f64 v[82:83], v[14:15], v[82:83]
	v_add_f64 v[84:85], v[12:13], v[84:85]
	v_add_f64 v[86:87], v[14:15], v[86:87]
	v_add_f64 v[88:89], v[12:13], v[88:89]
	v_add_f64 v[90:91], v[14:15], v[90:91]
	v_add_f64 v[92:93], v[12:13], v[92:93]
	v_add_f64 v[94:95], v[14:15], v[94:95]
	v_add_f64 v[98:99], v[12:13], v[98:99]
	v_add_f64 v[96:97], v[12:13], v[96:97]
	v_add_f64 v[102:103], v[14:15], v[102:103]
	v_add_f64 v[100:101], v[14:15], v[100:101]
	v_add_f64 v[104:105], v[12:13], v[104:105]
	v_add_f64 v[2:3], v[12:13], v[2:3]
	v_add_f64 v[106:107], v[14:15], v[106:107]
	v_add_f64 v[0:1], v[14:15], v[0:1]
	v_mul_f64 v[166:167], v[152:153], s[28:29]
	v_mul_f64 v[162:163], v[152:153], s[44:45]
	v_add_f64 v[4:5], v[120:121], v[4:5]
	v_fma_f64 v[120:121], v[110:111], s[6:7], -v[122:123]
	v_mul_f64 v[158:159], v[152:153], s[52:53]
	v_mul_f64 v[170:171], v[152:153], s[34:35]
	;; [unrolled: 1-line block ×7, first 2 shown]
	v_add_f64 v[6:7], v[120:121], v[6:7]
	v_mul_f64 v[120:121], v[118:119], s[44:45]
	scratch_store_b64 off, v[122:123], off offset:252 ; 8-byte Folded Spill
	v_mul_f64 v[122:123], v[116:117], s[44:45]
	scratch_store_b64 off, v[120:121], off offset:368 ; 8-byte Folded Spill
	v_fma_f64 v[120:121], v[108:109], s[10:11], v[120:121]
	scratch_store_b64 off, v[122:123], off offset:384 ; 8-byte Folded Spill
	v_add_f64 v[8:9], v[120:121], v[8:9]
	v_fma_f64 v[120:121], v[110:111], s[10:11], -v[122:123]
	v_mul_f64 v[122:123], v[116:117], s[26:27]
	s_delay_alu instid0(VALU_DEP_2)
	v_add_f64 v[10:11], v[120:121], v[10:11]
	v_mul_f64 v[120:121], v[118:119], s[26:27]
	s_clause 0x1
	scratch_store_b64 off, v[122:123], off offset:352
	scratch_store_b64 off, v[120:121], off offset:336
	v_fma_f64 v[120:121], v[108:109], s[18:19], v[120:121]
	s_delay_alu instid0(VALU_DEP_1) | instskip(SKIP_2) | instid1(VALU_DEP_2)
	v_add_f64 v[80:81], v[120:121], v[80:81]
	v_fma_f64 v[120:121], v[110:111], s[18:19], -v[122:123]
	v_mul_f64 v[122:123], v[116:117], s[34:35]
	v_add_f64 v[82:83], v[120:121], v[82:83]
	v_mul_f64 v[120:121], v[118:119], s[34:35]
	s_clause 0x1
	scratch_store_b64 off, v[122:123], off offset:316
	scratch_store_b64 off, v[120:121], off offset:300
	v_fma_f64 v[120:121], v[108:109], s[22:23], v[120:121]
	s_delay_alu instid0(VALU_DEP_1) | instskip(SKIP_2) | instid1(VALU_DEP_2)
	v_add_f64 v[84:85], v[120:121], v[84:85]
	v_fma_f64 v[120:121], v[110:111], s[22:23], -v[122:123]
	v_mul_f64 v[122:123], v[116:117], s[50:51]
	v_add_f64 v[86:87], v[120:121], v[86:87]
	v_mul_f64 v[120:121], v[118:119], s[50:51]
	scratch_store_b64 off, v[120:121], off offset:268 ; 8-byte Folded Spill
	v_fma_f64 v[120:121], v[108:109], s[20:21], v[120:121]
	s_delay_alu instid0(VALU_DEP_1) | instskip(SKIP_1) | instid1(VALU_DEP_1)
	v_add_f64 v[88:89], v[120:121], v[88:89]
	v_fma_f64 v[120:121], v[110:111], s[20:21], -v[122:123]
	v_add_f64 v[90:91], v[120:121], v[90:91]
	v_mul_f64 v[120:121], v[118:119], s[48:49]
	scratch_store_b64 off, v[122:123], off offset:284 ; 8-byte Folded Spill
	v_mul_f64 v[122:123], v[116:117], s[48:49]
	scratch_store_b64 off, v[120:121], off offset:400 ; 8-byte Folded Spill
	v_fma_f64 v[120:121], v[108:109], s[16:17], v[120:121]
	scratch_store_b64 off, v[122:123], off offset:416 ; 8-byte Folded Spill
	v_add_f64 v[92:93], v[120:121], v[92:93]
	v_fma_f64 v[120:121], v[110:111], s[16:17], -v[122:123]
	s_delay_alu instid0(VALU_DEP_1) | instskip(SKIP_2) | instid1(VALU_DEP_2)
	v_add_f64 v[94:95], v[120:121], v[94:95]
	v_mul_f64 v[120:121], v[118:119], s[28:29]
	v_mul_f64 v[118:119], v[118:119], s[42:43]
	v_fma_f64 v[122:123], v[108:109], s[8:9], -v[120:121]
	v_fma_f64 v[120:121], v[108:109], s[8:9], v[120:121]
	s_delay_alu instid0(VALU_DEP_2) | instskip(SKIP_1) | instid1(VALU_DEP_3)
	v_add_f64 v[98:99], v[122:123], v[98:99]
	v_mul_f64 v[122:123], v[116:117], s[28:29]
	v_add_f64 v[96:97], v[120:121], v[96:97]
	v_mul_f64 v[116:117], v[116:117], s[42:43]
	s_delay_alu instid0(VALU_DEP_3) | instskip(SKIP_1) | instid1(VALU_DEP_2)
	v_fma_f64 v[120:121], v[110:111], s[8:9], -v[122:123]
	v_fma_f64 v[124:125], v[110:111], s[8:9], v[122:123]
	v_add_f64 v[100:101], v[120:121], v[100:101]
	v_fma_f64 v[120:121], v[108:109], s[0:1], -v[118:119]
	v_fma_f64 v[118:119], v[108:109], s[0:1], v[118:119]
	s_delay_alu instid0(VALU_DEP_4) | instskip(NEXT) | instid1(VALU_DEP_3)
	v_add_f64 v[102:103], v[124:125], v[102:103]
	v_add_f64 v[104:105], v[120:121], v[104:105]
	v_fma_f64 v[120:121], v[110:111], s[0:1], v[116:117]
	s_delay_alu instid0(VALU_DEP_4) | instskip(SKIP_2) | instid1(VALU_DEP_4)
	v_add_f64 v[2:3], v[118:119], v[2:3]
	v_fma_f64 v[116:117], v[110:111], s[0:1], -v[116:117]
	v_add_f64 v[118:119], v[50:51], -v[26:27]
	v_add_f64 v[106:107], v[120:121], v[106:107]
	s_delay_alu instid0(VALU_DEP_3) | instskip(SKIP_1) | instid1(VALU_DEP_4)
	v_add_f64 v[0:1], v[116:117], v[0:1]
	v_add_f64 v[116:117], v[48:49], -v[24:25]
	v_mul_f64 v[120:121], v[118:119], s[36:37]
	s_delay_alu instid0(VALU_DEP_2) | instskip(SKIP_2) | instid1(VALU_DEP_1)
	v_mul_f64 v[122:123], v[116:117], s[36:37]
	scratch_store_b64 off, v[120:121], off offset:432 ; 8-byte Folded Spill
	v_fma_f64 v[120:121], v[144:145], s[8:9], v[120:121]
	v_add_f64 v[4:5], v[120:121], v[4:5]
	v_fma_f64 v[120:121], v[148:149], s[8:9], -v[122:123]
	s_delay_alu instid0(VALU_DEP_1)
	v_add_f64 v[6:7], v[120:121], v[6:7]
	v_mul_f64 v[120:121], v[118:119], s[26:27]
	scratch_store_b64 off, v[122:123], off offset:440 ; 8-byte Folded Spill
	v_mul_f64 v[122:123], v[116:117], s[26:27]
	scratch_store_b64 off, v[120:121], off offset:496 ; 8-byte Folded Spill
	v_fma_f64 v[120:121], v[144:145], s[18:19], v[120:121]
	scratch_store_b64 off, v[122:123], off offset:504 ; 8-byte Folded Spill
	v_add_f64 v[8:9], v[120:121], v[8:9]
	v_fma_f64 v[120:121], v[148:149], s[18:19], -v[122:123]
	v_mul_f64 v[122:123], v[116:117], s[40:41]
	s_delay_alu instid0(VALU_DEP_2)
	v_add_f64 v[10:11], v[120:121], v[10:11]
	v_mul_f64 v[120:121], v[118:119], s[40:41]
	s_mov_b32 s41, 0x3fe58eea
	s_mov_b32 s40, s46
	scratch_store_b64 off, v[122:123], off offset:488 ; 8-byte Folded Spill
	v_mul_f64 v[178:179], v[152:153], s[40:41]
	v_mul_f64 v[192:193], v[198:199], s[40:41]
	scratch_store_b64 off, v[120:121], off offset:480 ; 8-byte Folded Spill
	v_fma_f64 v[120:121], v[144:145], s[22:23], v[120:121]
	s_delay_alu instid0(VALU_DEP_1) | instskip(SKIP_2) | instid1(VALU_DEP_2)
	v_add_f64 v[80:81], v[120:121], v[80:81]
	v_fma_f64 v[120:121], v[148:149], s[22:23], -v[122:123]
	v_mul_f64 v[122:123], v[116:117], s[48:49]
	v_add_f64 v[82:83], v[120:121], v[82:83]
	v_mul_f64 v[120:121], v[118:119], s[48:49]
	s_clause 0x1
	scratch_store_b64 off, v[122:123], off offset:472
	scratch_store_b64 off, v[120:121], off offset:464
	v_fma_f64 v[120:121], v[144:145], s[16:17], v[120:121]
	s_delay_alu instid0(VALU_DEP_1) | instskip(SKIP_2) | instid1(VALU_DEP_2)
	v_add_f64 v[84:85], v[120:121], v[84:85]
	v_fma_f64 v[120:121], v[148:149], s[16:17], -v[122:123]
	v_mul_f64 v[122:123], v[116:117], s[40:41]
	v_add_f64 v[86:87], v[120:121], v[86:87]
	v_mul_f64 v[120:121], v[118:119], s[40:41]
	scratch_store_b64 off, v[120:121], off offset:448 ; 8-byte Folded Spill
	v_fma_f64 v[120:121], v[144:145], s[6:7], v[120:121]
	s_delay_alu instid0(VALU_DEP_1) | instskip(SKIP_1) | instid1(VALU_DEP_1)
	v_add_f64 v[88:89], v[120:121], v[88:89]
	v_fma_f64 v[120:121], v[148:149], s[6:7], -v[122:123]
	v_add_f64 v[90:91], v[120:121], v[90:91]
	v_mul_f64 v[120:121], v[118:119], s[38:39]
	scratch_store_b64 off, v[122:123], off offset:456 ; 8-byte Folded Spill
	v_mul_f64 v[122:123], v[116:117], s[38:39]
	scratch_store_b64 off, v[120:121], off offset:512 ; 8-byte Folded Spill
	v_fma_f64 v[120:121], v[144:145], s[0:1], v[120:121]
	scratch_store_b64 off, v[122:123], off offset:520 ; 8-byte Folded Spill
	v_add_f64 v[92:93], v[120:121], v[92:93]
	v_fma_f64 v[120:121], v[148:149], s[0:1], -v[122:123]
	s_delay_alu instid0(VALU_DEP_1) | instskip(SKIP_2) | instid1(VALU_DEP_2)
	v_add_f64 v[94:95], v[120:121], v[94:95]
	v_mul_f64 v[120:121], v[118:119], s[44:45]
	v_mul_f64 v[118:119], v[118:119], s[30:31]
	v_fma_f64 v[122:123], v[144:145], s[10:11], -v[120:121]
	v_fma_f64 v[120:121], v[144:145], s[10:11], v[120:121]
	s_delay_alu instid0(VALU_DEP_2) | instskip(SKIP_1) | instid1(VALU_DEP_3)
	v_add_f64 v[98:99], v[122:123], v[98:99]
	v_mul_f64 v[122:123], v[116:117], s[44:45]
	v_add_f64 v[96:97], v[120:121], v[96:97]
	v_mul_f64 v[116:117], v[116:117], s[30:31]
	s_delay_alu instid0(VALU_DEP_3) | instskip(SKIP_1) | instid1(VALU_DEP_2)
	v_fma_f64 v[120:121], v[148:149], s[10:11], -v[122:123]
	v_fma_f64 v[124:125], v[148:149], s[10:11], v[122:123]
	v_add_f64 v[100:101], v[120:121], v[100:101]
	v_fma_f64 v[120:121], v[144:145], s[20:21], -v[118:119]
	v_fma_f64 v[118:119], v[144:145], s[20:21], v[118:119]
	s_delay_alu instid0(VALU_DEP_4) | instskip(NEXT) | instid1(VALU_DEP_3)
	v_add_f64 v[102:103], v[124:125], v[102:103]
	v_add_f64 v[104:105], v[120:121], v[104:105]
	v_fma_f64 v[120:121], v[148:149], s[20:21], v[116:117]
	s_delay_alu instid0(VALU_DEP_4) | instskip(SKIP_2) | instid1(VALU_DEP_4)
	v_add_f64 v[2:3], v[118:119], v[2:3]
	v_fma_f64 v[116:117], v[148:149], s[20:21], -v[116:117]
	v_add_f64 v[118:119], v[54:55], -v[30:31]
	v_add_f64 v[106:107], v[120:121], v[106:107]
	s_delay_alu instid0(VALU_DEP_3) | instskip(SKIP_1) | instid1(VALU_DEP_4)
	v_add_f64 v[0:1], v[116:117], v[0:1]
	v_add_f64 v[116:117], v[52:53], -v[28:29]
	v_mul_f64 v[120:121], v[118:119], s[44:45]
	v_mul_f64 v[217:218], v[118:119], s[34:35]
	;; [unrolled: 1-line block ×3, first 2 shown]
	s_delay_alu instid0(VALU_DEP_4) | instskip(SKIP_4) | instid1(VALU_DEP_3)
	v_mul_f64 v[122:123], v[116:117], s[44:45]
	scratch_store_b64 off, v[120:121], off offset:528 ; 8-byte Folded Spill
	v_fma_f64 v[120:121], v[172:173], s[10:11], v[120:121]
	v_mul_f64 v[219:220], v[116:117], s[34:35]
	v_mul_f64 v[223:224], v[116:117], s[30:31]
	v_add_f64 v[4:5], v[120:121], v[4:5]
	v_fma_f64 v[120:121], v[176:177], s[10:11], -v[122:123]
	s_delay_alu instid0(VALU_DEP_1) | instskip(SKIP_1) | instid1(VALU_DEP_1)
	v_add_f64 v[6:7], v[120:121], v[6:7]
	v_fma_f64 v[120:121], v[172:173], s[22:23], v[217:218]
	v_add_f64 v[8:9], v[120:121], v[8:9]
	v_fma_f64 v[120:121], v[176:177], s[22:23], -v[219:220]
	s_delay_alu instid0(VALU_DEP_1)
	v_add_f64 v[10:11], v[120:121], v[10:11]
	v_mul_f64 v[120:121], v[118:119], s[48:49]
	scratch_store_b64 off, v[122:123], off offset:536 ; 8-byte Folded Spill
	v_mul_f64 v[122:123], v[116:117], s[48:49]
	scratch_store_b64 off, v[120:121], off offset:576 ; 8-byte Folded Spill
	v_fma_f64 v[120:121], v[172:173], s[16:17], v[120:121]
	scratch_store_b64 off, v[122:123], off offset:584 ; 8-byte Folded Spill
	v_add_f64 v[80:81], v[120:121], v[80:81]
	v_fma_f64 v[120:121], v[176:177], s[16:17], -v[122:123]
	v_mul_f64 v[122:123], v[116:117], s[42:43]
	s_delay_alu instid0(VALU_DEP_2)
	v_add_f64 v[82:83], v[120:121], v[82:83]
	v_mul_f64 v[120:121], v[118:119], s[42:43]
	s_clause 0x1
	scratch_store_b64 off, v[122:123], off offset:568
	scratch_store_b64 off, v[120:121], off offset:560
	v_fma_f64 v[120:121], v[172:173], s[0:1], v[120:121]
	s_delay_alu instid0(VALU_DEP_1) | instskip(SKIP_2) | instid1(VALU_DEP_2)
	v_add_f64 v[84:85], v[120:121], v[84:85]
	v_fma_f64 v[120:121], v[176:177], s[0:1], -v[122:123]
	v_mul_f64 v[122:123], v[116:117], s[36:37]
	v_add_f64 v[86:87], v[120:121], v[86:87]
	v_mul_f64 v[120:121], v[118:119], s[36:37]
	s_clause 0x1
	scratch_store_b64 off, v[122:123], off offset:552
	scratch_store_b64 off, v[120:121], off offset:544
	v_fma_f64 v[120:121], v[172:173], s[8:9], v[120:121]
	s_delay_alu instid0(VALU_DEP_1) | instskip(SKIP_1) | instid1(VALU_DEP_1)
	v_add_f64 v[88:89], v[120:121], v[88:89]
	v_fma_f64 v[120:121], v[176:177], s[8:9], -v[122:123]
	v_add_f64 v[90:91], v[120:121], v[90:91]
	v_fma_f64 v[120:121], v[172:173], s[20:21], v[221:222]
	s_delay_alu instid0(VALU_DEP_1) | instskip(SKIP_1) | instid1(VALU_DEP_1)
	v_add_f64 v[92:93], v[120:121], v[92:93]
	v_fma_f64 v[120:121], v[176:177], s[20:21], -v[223:224]
	v_add_f64 v[94:95], v[120:121], v[94:95]
	v_mul_f64 v[120:121], v[118:119], s[52:53]
	v_mul_f64 v[118:119], v[118:119], s[40:41]
	s_delay_alu instid0(VALU_DEP_2) | instskip(SKIP_1) | instid1(VALU_DEP_2)
	v_fma_f64 v[122:123], v[172:173], s[18:19], -v[120:121]
	v_fma_f64 v[120:121], v[172:173], s[18:19], v[120:121]
	v_add_f64 v[98:99], v[122:123], v[98:99]
	v_mul_f64 v[122:123], v[116:117], s[52:53]
	s_delay_alu instid0(VALU_DEP_3) | instskip(SKIP_1) | instid1(VALU_DEP_3)
	v_add_f64 v[96:97], v[120:121], v[96:97]
	v_mul_f64 v[116:117], v[116:117], s[40:41]
	v_fma_f64 v[120:121], v[176:177], s[18:19], -v[122:123]
	v_fma_f64 v[124:125], v[176:177], s[18:19], v[122:123]
	s_delay_alu instid0(VALU_DEP_2) | instskip(SKIP_2) | instid1(VALU_DEP_4)
	v_add_f64 v[100:101], v[120:121], v[100:101]
	v_fma_f64 v[120:121], v[172:173], s[6:7], -v[118:119]
	v_fma_f64 v[118:119], v[172:173], s[6:7], v[118:119]
	v_add_f64 v[102:103], v[124:125], v[102:103]
	s_delay_alu instid0(VALU_DEP_3) | instskip(SKIP_1) | instid1(VALU_DEP_4)
	v_add_f64 v[104:105], v[120:121], v[104:105]
	v_fma_f64 v[120:121], v[176:177], s[6:7], v[116:117]
	v_add_f64 v[2:3], v[118:119], v[2:3]
	v_fma_f64 v[116:117], v[176:177], s[6:7], -v[116:117]
	v_add_f64 v[118:119], v[58:59], -v[34:35]
	s_delay_alu instid0(VALU_DEP_4) | instskip(NEXT) | instid1(VALU_DEP_3)
	v_add_f64 v[106:107], v[120:121], v[106:107]
	v_add_f64 v[0:1], v[116:117], v[0:1]
	v_add_f64 v[116:117], v[56:57], -v[32:33]
	s_delay_alu instid0(VALU_DEP_4)
	v_mul_f64 v[225:226], v[118:119], s[24:25]
	v_mul_f64 v[245:246], v[118:119], s[50:51]
	;; [unrolled: 1-line block ×6, first 2 shown]
	v_fma_f64 v[120:121], v[201:202], s[16:17], v[225:226]
	v_mul_f64 v[247:248], v[116:117], s[50:51]
	v_mul_f64 v[243:244], v[116:117], s[40:41]
	;; [unrolled: 1-line block ×4, first 2 shown]
	s_mov_b32 s37, 0x3fefdd0d
	s_mov_b32 s36, s44
	s_delay_alu instid0(SALU_CYCLE_1) | instskip(SKIP_3) | instid1(VALU_DEP_1)
	v_mul_f64 v[249:250], v[118:119], s[36:37]
	v_mul_f64 v[251:252], v[116:117], s[36:37]
	v_add_f64 v[4:5], v[120:121], v[4:5]
	v_fma_f64 v[120:121], v[203:204], s[16:17], -v[227:228]
	v_add_f64 v[6:7], v[120:121], v[6:7]
	v_fma_f64 v[120:121], v[201:202], s[20:21], v[245:246]
	s_delay_alu instid0(VALU_DEP_1) | instskip(SKIP_1) | instid1(VALU_DEP_1)
	v_add_f64 v[8:9], v[120:121], v[8:9]
	v_fma_f64 v[120:121], v[203:204], s[20:21], -v[247:248]
	v_add_f64 v[10:11], v[120:121], v[10:11]
	v_fma_f64 v[120:121], v[201:202], s[6:7], v[241:242]
	s_delay_alu instid0(VALU_DEP_1) | instskip(SKIP_1) | instid1(VALU_DEP_1)
	;; [unrolled: 5-line block ×5, first 2 shown]
	v_add_f64 v[92:93], v[120:121], v[92:93]
	v_fma_f64 v[120:121], v[203:204], s[10:11], -v[251:252]
	v_add_f64 v[94:95], v[120:121], v[94:95]
	v_mul_f64 v[120:121], v[118:119], s[38:39]
	v_mul_f64 v[118:119], v[118:119], s[26:27]
	s_delay_alu instid0(VALU_DEP_2) | instskip(SKIP_1) | instid1(VALU_DEP_2)
	v_fma_f64 v[122:123], v[201:202], s[0:1], -v[120:121]
	v_fma_f64 v[120:121], v[201:202], s[0:1], v[120:121]
	v_add_f64 v[98:99], v[122:123], v[98:99]
	v_mul_f64 v[122:123], v[116:117], s[38:39]
	s_delay_alu instid0(VALU_DEP_3) | instskip(SKIP_1) | instid1(VALU_DEP_3)
	v_add_f64 v[96:97], v[120:121], v[96:97]
	v_mul_f64 v[116:117], v[116:117], s[26:27]
	v_fma_f64 v[120:121], v[203:204], s[0:1], -v[122:123]
	v_fma_f64 v[124:125], v[203:204], s[0:1], v[122:123]
	s_delay_alu instid0(VALU_DEP_2) | instskip(SKIP_2) | instid1(VALU_DEP_4)
	v_add_f64 v[100:101], v[120:121], v[100:101]
	v_fma_f64 v[120:121], v[201:202], s[18:19], -v[118:119]
	v_fma_f64 v[118:119], v[201:202], s[18:19], v[118:119]
	v_add_f64 v[102:103], v[124:125], v[102:103]
	s_delay_alu instid0(VALU_DEP_3) | instskip(SKIP_1) | instid1(VALU_DEP_4)
	v_add_f64 v[104:105], v[120:121], v[104:105]
	v_fma_f64 v[120:121], v[203:204], s[18:19], v[116:117]
	v_add_f64 v[2:3], v[118:119], v[2:3]
	v_fma_f64 v[116:117], v[203:204], s[18:19], -v[116:117]
	v_add_f64 v[118:119], v[60:61], -v[36:37]
	s_delay_alu instid0(VALU_DEP_4) | instskip(SKIP_1) | instid1(VALU_DEP_4)
	v_add_f64 v[106:107], v[120:121], v[106:107]
	v_add_f64 v[120:121], v[62:63], -v[38:39]
	v_add_f64 v[0:1], v[116:117], v[0:1]
	s_delay_alu instid0(VALU_DEP_4)
	v_mul_f64 v[116:117], v[118:119], s[26:27]
	v_mul_f64 v[136:137], v[118:119], s[48:49]
	;; [unrolled: 1-line block ×10, first 2 shown]
	s_delay_alu instid0(VALU_DEP_4) | instskip(NEXT) | instid1(VALU_DEP_1)
	v_fma_f64 v[122:123], v[229:230], s[18:19], v[253:254]
	v_add_f64 v[4:5], v[122:123], v[4:5]
	v_fma_f64 v[122:123], v[231:232], s[18:19], -v[116:117]
	s_delay_alu instid0(VALU_DEP_1) | instskip(SKIP_1) | instid1(VALU_DEP_1)
	v_add_f64 v[6:7], v[122:123], v[6:7]
	v_fma_f64 v[122:123], v[229:230], s[16:17], v[134:135]
	v_add_f64 v[8:9], v[122:123], v[8:9]
	v_fma_f64 v[122:123], v[231:232], s[16:17], -v[136:137]
	s_delay_alu instid0(VALU_DEP_1) | instskip(SKIP_1) | instid1(VALU_DEP_1)
	v_add_f64 v[10:11], v[122:123], v[10:11]
	v_fma_f64 v[122:123], v[229:230], s[0:1], v[130:131]
	v_add_f64 v[80:81], v[122:123], v[80:81]
	v_fma_f64 v[122:123], v[231:232], s[0:1], -v[132:133]
	s_delay_alu instid0(VALU_DEP_1) | instskip(SKIP_1) | instid1(VALU_DEP_1)
	v_add_f64 v[82:83], v[122:123], v[82:83]
	v_fma_f64 v[122:123], v[229:230], s[20:21], v[126:127]
	v_add_f64 v[84:85], v[122:123], v[84:85]
	v_fma_f64 v[122:123], v[231:232], s[20:21], -v[128:129]
	s_delay_alu instid0(VALU_DEP_1) | instskip(SKIP_1) | instid1(VALU_DEP_1)
	v_add_f64 v[86:87], v[122:123], v[86:87]
	v_mul_f64 v[122:123], v[120:121], s[36:37]
	v_fma_f64 v[138:139], v[229:230], s[10:11], v[122:123]
	s_delay_alu instid0(VALU_DEP_1) | instskip(SKIP_1) | instid1(VALU_DEP_1)
	v_add_f64 v[88:89], v[138:139], v[88:89]
	v_fma_f64 v[138:139], v[231:232], s[10:11], -v[124:125]
	v_add_f64 v[90:91], v[138:139], v[90:91]
	v_mul_f64 v[138:139], v[120:121], s[46:47]
	s_delay_alu instid0(VALU_DEP_1) | instskip(NEXT) | instid1(VALU_DEP_1)
	v_fma_f64 v[142:143], v[229:230], s[6:7], v[138:139]
	v_add_f64 v[92:93], v[142:143], v[92:93]
	v_fma_f64 v[142:143], v[231:232], s[6:7], -v[140:141]
	s_delay_alu instid0(VALU_DEP_1) | instskip(SKIP_2) | instid1(VALU_DEP_2)
	v_add_f64 v[94:95], v[142:143], v[94:95]
	v_mul_f64 v[142:143], v[120:121], s[34:35]
	v_mul_f64 v[120:121], v[120:121], s[28:29]
	v_fma_f64 v[146:147], v[229:230], s[22:23], -v[142:143]
	v_fma_f64 v[142:143], v[229:230], s[22:23], v[142:143]
	s_delay_alu instid0(VALU_DEP_2) | instskip(SKIP_1) | instid1(VALU_DEP_3)
	v_add_f64 v[98:99], v[146:147], v[98:99]
	v_mul_f64 v[146:147], v[118:119], s[34:35]
	v_add_f64 v[96:97], v[142:143], v[96:97]
	v_mul_f64 v[118:119], v[118:119], s[28:29]
	s_delay_alu instid0(VALU_DEP_3) | instskip(SKIP_1) | instid1(VALU_DEP_2)
	v_fma_f64 v[142:143], v[231:232], s[22:23], -v[146:147]
	v_fma_f64 v[150:151], v[231:232], s[22:23], v[146:147]
	v_add_f64 v[100:101], v[142:143], v[100:101]
	v_fma_f64 v[142:143], v[229:230], s[8:9], -v[120:121]
	s_delay_alu instid0(VALU_DEP_3) | instskip(SKIP_2) | instid1(VALU_DEP_4)
	v_add_f64 v[102:103], v[150:151], v[102:103]
	v_fma_f64 v[120:121], v[229:230], s[8:9], v[120:121]
	v_add_f64 v[150:151], v[68:69], -v[64:65]
	v_add_f64 v[104:105], v[142:143], v[104:105]
	v_fma_f64 v[142:143], v[231:232], s[8:9], v[118:119]
	v_fma_f64 v[118:119], v[231:232], s[8:9], -v[118:119]
	v_add_f64 v[2:3], v[120:121], v[2:3]
	v_add_f64 v[120:121], v[70:71], v[66:67]
	v_mul_f64 v[146:147], v[150:151], s[30:31]
	v_mul_f64 v[168:169], v[150:151], s[28:29]
	;; [unrolled: 1-line block ×6, first 2 shown]
	v_add_f64 v[106:107], v[142:143], v[106:107]
	v_add_f64 v[0:1], v[118:119], v[0:1]
	;; [unrolled: 1-line block ×3, first 2 shown]
	v_mul_f64 v[142:143], v[152:153], s[30:31]
	s_delay_alu instid0(VALU_DEP_1) | instskip(NEXT) | instid1(VALU_DEP_1)
	v_fma_f64 v[154:155], v[118:119], s[20:21], v[142:143]
	v_add_f64 v[4:5], v[154:155], v[4:5]
	v_fma_f64 v[154:155], v[120:121], s[20:21], -v[146:147]
	s_delay_alu instid0(VALU_DEP_1) | instskip(SKIP_1) | instid1(VALU_DEP_1)
	v_add_f64 v[6:7], v[154:155], v[6:7]
	v_fma_f64 v[154:155], v[118:119], s[8:9], v[166:167]
	v_add_f64 v[186:187], v[154:155], v[8:9]
	v_fma_f64 v[8:9], v[120:121], s[8:9], -v[168:169]
	v_mul_f64 v[154:155], v[152:153], s[38:39]
	v_mul_f64 v[152:153], v[152:153], s[24:25]
	s_delay_alu instid0(VALU_DEP_3) | instskip(SKIP_2) | instid1(VALU_DEP_2)
	v_add_f64 v[188:189], v[8:9], v[10:11]
	v_fma_f64 v[8:9], v[118:119], s[10:11], v[162:163]
	v_fma_f64 v[10:11], v[120:121], s[10:11], -v[164:165]
	v_add_f64 v[8:9], v[8:9], v[80:81]
	v_fma_f64 v[80:81], v[118:119], s[18:19], v[158:159]
	s_delay_alu instid0(VALU_DEP_3) | instskip(SKIP_1) | instid1(VALU_DEP_3)
	v_add_f64 v[10:11], v[10:11], v[82:83]
	v_fma_f64 v[82:83], v[120:121], s[18:19], -v[160:161]
	v_add_f64 v[80:81], v[80:81], v[84:85]
	v_fma_f64 v[84:85], v[118:119], s[0:1], v[154:155]
	s_delay_alu instid0(VALU_DEP_3) | instskip(NEXT) | instid1(VALU_DEP_2)
	v_add_f64 v[82:83], v[82:83], v[86:87]
	v_add_f64 v[88:89], v[84:85], v[88:89]
	v_fma_f64 v[84:85], v[120:121], s[0:1], -v[156:157]
	s_delay_alu instid0(VALU_DEP_1) | instskip(SKIP_1) | instid1(VALU_DEP_1)
	v_add_f64 v[90:91], v[84:85], v[90:91]
	v_fma_f64 v[84:85], v[118:119], s[22:23], v[170:171]
	v_add_f64 v[92:93], v[84:85], v[92:93]
	v_fma_f64 v[84:85], v[120:121], s[22:23], -v[174:175]
	s_delay_alu instid0(VALU_DEP_1) | instskip(SKIP_1) | instid1(VALU_DEP_1)
	v_add_f64 v[94:95], v[84:85], v[94:95]
	v_fma_f64 v[84:85], v[118:119], s[6:7], -v[178:179]
	v_add_f64 v[84:85], v[84:85], v[98:99]
	v_mul_f64 v[98:99], v[150:151], s[40:41]
	v_mul_f64 v[150:151], v[150:151], s[24:25]
	s_delay_alu instid0(VALU_DEP_2) | instskip(SKIP_1) | instid1(VALU_DEP_2)
	v_fma_f64 v[86:87], v[120:121], s[6:7], v[98:99]
	v_fma_f64 v[98:99], v[120:121], s[6:7], -v[98:99]
	v_add_f64 v[86:87], v[86:87], v[102:103]
	s_delay_alu instid0(VALU_DEP_2) | instskip(SKIP_3) | instid1(VALU_DEP_3)
	v_add_f64 v[98:99], v[98:99], v[100:101]
	v_fma_f64 v[100:101], v[118:119], s[16:17], -v[152:153]
	v_fma_f64 v[102:103], v[118:119], s[6:7], v[178:179]
	v_mul_f64 v[178:179], v[209:210], s[34:35]
	v_add_f64 v[100:101], v[100:101], v[104:105]
	v_fma_f64 v[104:105], v[118:119], s[16:17], v[152:153]
	s_delay_alu instid0(VALU_DEP_4) | instskip(SKIP_2) | instid1(VALU_DEP_4)
	v_add_f64 v[96:97], v[102:103], v[96:97]
	v_fma_f64 v[102:103], v[120:121], s[16:17], v[150:151]
	v_add_f64 v[152:153], v[74:75], v[78:79]
	v_add_f64 v[104:105], v[104:105], v[2:3]
	v_fma_f64 v[2:3], v[120:121], s[16:17], -v[150:151]
	v_add_f64 v[150:151], v[72:73], v[76:77]
	v_add_f64 v[102:103], v[102:103], v[106:107]
	s_delay_alu instid0(VALU_DEP_3) | instskip(NEXT) | instid1(VALU_DEP_3)
	v_add_f64 v[106:107], v[2:3], v[0:1]
	v_fma_f64 v[0:1], v[150:151], s[22:23], v[178:179]
	v_fma_f64 v[2:3], v[152:153], s[22:23], -v[180:181]
	s_delay_alu instid0(VALU_DEP_2) | instskip(NEXT) | instid1(VALU_DEP_2)
	v_add_f64 v[0:1], v[0:1], v[4:5]
	v_add_f64 v[2:3], v[2:3], v[6:7]
	v_fma_f64 v[4:5], v[150:151], s[0:1], v[182:183]
	v_fma_f64 v[6:7], v[152:153], s[0:1], -v[184:185]
	scratch_store_b128 off, v[0:3], off offset:12 ; 16-byte Folded Spill
	v_add_f64 v[0:1], v[4:5], v[186:187]
	v_mul_f64 v[186:187], v[209:210], s[30:31]
	v_add_f64 v[2:3], v[6:7], v[188:189]
	v_mul_f64 v[188:189], v[198:199], s[30:31]
	s_delay_alu instid0(VALU_DEP_3) | instskip(SKIP_3) | instid1(VALU_DEP_1)
	v_fma_f64 v[190:191], v[150:151], s[20:21], v[186:187]
	scratch_store_b128 off, v[0:3], off offset:28 ; 16-byte Folded Spill
	v_add_f64 v[0:1], v[190:191], v[8:9]
	v_fma_f64 v[190:191], v[152:153], s[20:21], -v[188:189]
	v_add_f64 v[2:3], v[190:191], v[10:11]
	v_mul_f64 v[190:191], v[209:210], s[40:41]
	scratch_store_b128 off, v[0:3], off offset:44 ; 16-byte Folded Spill
	v_fma_f64 v[194:195], v[150:151], s[6:7], v[190:191]
	s_waitcnt lgkmcnt(0)
	s_waitcnt_vscnt null, 0x0
	s_barrier
	buffer_gl0_inv
	scratch_load_b32 v6, off, off offset:8  ; 4-byte Folded Reload
	v_add_f64 v[80:81], v[194:195], v[80:81]
	v_fma_f64 v[194:195], v[152:153], s[6:7], -v[192:193]
	s_delay_alu instid0(VALU_DEP_1) | instskip(SKIP_1) | instid1(VALU_DEP_1)
	v_add_f64 v[82:83], v[194:195], v[82:83]
	v_mul_f64 v[194:195], v[209:210], s[26:27]
	v_fma_f64 v[205:206], v[150:151], s[18:19], v[194:195]
	s_delay_alu instid0(VALU_DEP_1) | instskip(SKIP_1) | instid1(VALU_DEP_1)
	v_add_f64 v[88:89], v[205:206], v[88:89]
	v_fma_f64 v[205:206], v[152:153], s[18:19], -v[196:197]
	v_add_f64 v[90:91], v[205:206], v[90:91]
	v_mul_f64 v[205:206], v[209:210], s[28:29]
	s_delay_alu instid0(VALU_DEP_1) | instskip(NEXT) | instid1(VALU_DEP_1)
	v_fma_f64 v[211:212], v[150:151], s[8:9], v[205:206]
	v_add_f64 v[92:93], v[211:212], v[92:93]
	v_fma_f64 v[211:212], v[152:153], s[8:9], -v[207:208]
	s_delay_alu instid0(VALU_DEP_1)
	v_add_f64 v[94:95], v[211:212], v[94:95]
	v_mul_f64 v[211:212], v[209:210], s[24:25]
	v_mul_f64 v[209:210], v[209:210], s[36:37]
	s_waitcnt vmcnt(0)
	v_mul_lo_u16 v0, v6, 17
	scratch_store_b32 off, v0, off offset:332 ; 4-byte Folded Spill
	v_fma_f64 v[213:214], v[150:151], s[16:17], -v[211:212]
	v_fma_f64 v[211:212], v[150:151], s[16:17], v[211:212]
	s_delay_alu instid0(VALU_DEP_2) | instskip(SKIP_1) | instid1(VALU_DEP_3)
	v_add_f64 v[84:85], v[213:214], v[84:85]
	v_mul_f64 v[213:214], v[198:199], s[24:25]
	v_add_f64 v[96:97], v[211:212], v[96:97]
	v_mul_f64 v[198:199], v[198:199], s[36:37]
	s_delay_alu instid0(VALU_DEP_3) | instskip(SKIP_1) | instid1(VALU_DEP_2)
	v_fma_f64 v[211:212], v[152:153], s[16:17], -v[213:214]
	v_fma_f64 v[215:216], v[152:153], s[16:17], v[213:214]
	v_add_f64 v[98:99], v[211:212], v[98:99]
	v_fma_f64 v[211:212], v[150:151], s[10:11], -v[209:210]
	v_fma_f64 v[209:210], v[150:151], s[10:11], v[209:210]
	s_delay_alu instid0(VALU_DEP_4) | instskip(NEXT) | instid1(VALU_DEP_3)
	v_add_f64 v[86:87], v[215:216], v[86:87]
	v_add_f64 v[100:101], v[211:212], v[100:101]
	v_fma_f64 v[211:212], v[152:153], s[10:11], v[198:199]
	v_fma_f64 v[198:199], v[152:153], s[10:11], -v[198:199]
	v_add_f64 v[104:105], v[209:210], v[104:105]
	s_delay_alu instid0(VALU_DEP_3) | instskip(NEXT) | instid1(VALU_DEP_3)
	v_add_f64 v[102:103], v[211:212], v[102:103]
	v_add_f64 v[106:107], v[198:199], v[106:107]
	s_and_saveexec_b32 s24, vcc_lo
	s_cbranch_execz .LBB0_7
; %bb.6:
	v_add_f64 v[40:41], v[12:13], v[40:41]
	scratch_load_b64 v[0:1], off, off offset:220 ; 8-byte Folded Reload
	v_add_f64 v[42:43], v[14:15], v[42:43]
	v_add_f64 v[40:41], v[40:41], v[44:45]
	s_delay_alu instid0(VALU_DEP_2) | instskip(NEXT) | instid1(VALU_DEP_2)
	v_add_f64 v[42:43], v[42:43], v[46:47]
	v_add_f64 v[40:41], v[40:41], v[48:49]
	v_mul_f64 v[48:49], v[144:145], s[0:1]
	s_delay_alu instid0(VALU_DEP_3) | instskip(SKIP_1) | instid1(VALU_DEP_4)
	v_add_f64 v[42:43], v[42:43], v[50:51]
	v_mul_f64 v[50:51], v[108:109], s[16:17]
	v_add_f64 v[40:41], v[40:41], v[52:53]
	v_mul_f64 v[52:53], v[203:204], s[10:11]
	s_delay_alu instid0(VALU_DEP_4) | instskip(SKIP_1) | instid1(VALU_DEP_4)
	v_add_f64 v[42:43], v[42:43], v[54:55]
	v_mul_f64 v[54:55], v[201:202], s[10:11]
	v_add_f64 v[40:41], v[40:41], v[56:57]
	s_delay_alu instid0(VALU_DEP_4) | instskip(NEXT) | instid1(VALU_DEP_4)
	v_add_f64 v[52:53], v[251:252], v[52:53]
	v_add_f64 v[42:43], v[42:43], v[58:59]
	v_mul_f64 v[56:57], v[231:232], s[6:7]
	v_add_f64 v[54:55], v[54:55], -v[249:250]
	v_add_f64 v[40:41], v[40:41], v[60:61]
	s_delay_alu instid0(VALU_DEP_4) | instskip(NEXT) | instid1(VALU_DEP_4)
	v_add_f64 v[42:43], v[42:43], v[62:63]
	v_add_f64 v[56:57], v[140:141], v[56:57]
	s_delay_alu instid0(VALU_DEP_3) | instskip(NEXT) | instid1(VALU_DEP_3)
	v_add_f64 v[40:41], v[40:41], v[68:69]
	v_add_f64 v[42:43], v[42:43], v[70:71]
	s_delay_alu instid0(VALU_DEP_2) | instskip(NEXT) | instid1(VALU_DEP_2)
	v_add_f64 v[40:41], v[40:41], v[72:73]
	v_add_f64 v[42:43], v[42:43], v[74:75]
	s_delay_alu instid0(VALU_DEP_2) | instskip(NEXT) | instid1(VALU_DEP_2)
	v_add_f64 v[40:41], v[40:41], v[76:77]
	v_add_f64 v[42:43], v[42:43], v[78:79]
	s_delay_alu instid0(VALU_DEP_2) | instskip(NEXT) | instid1(VALU_DEP_2)
	v_add_f64 v[40:41], v[40:41], v[64:65]
	v_add_f64 v[42:43], v[42:43], v[66:67]
	s_delay_alu instid0(VALU_DEP_2) | instskip(SKIP_1) | instid1(VALU_DEP_3)
	v_add_f64 v[36:37], v[40:41], v[36:37]
	v_mul_f64 v[40:41], v[114:115], s[0:1]
	v_add_f64 v[38:39], v[42:43], v[38:39]
	v_mul_f64 v[42:43], v[112:113], s[0:1]
	s_delay_alu instid0(VALU_DEP_4) | instskip(SKIP_1) | instid1(VALU_DEP_4)
	v_add_f64 v[32:33], v[36:37], v[32:33]
	v_mul_f64 v[36:37], v[114:115], s[6:7]
	v_add_f64 v[34:35], v[38:39], v[34:35]
	v_mul_f64 v[38:39], v[112:113], s[6:7]
	s_delay_alu instid0(VALU_DEP_4) | instskip(SKIP_1) | instid1(VALU_DEP_4)
	;; [unrolled: 5-line block ×5, first 2 shown]
	v_add_f64 v[16:17], v[20:21], v[16:17]
	v_mul_f64 v[20:21], v[114:115], s[18:19]
	v_add_f64 v[18:19], v[22:23], v[18:19]
	v_mul_f64 v[22:23], v[112:113], s[18:19]
	s_waitcnt vmcnt(0)
	s_delay_alu instid0(VALU_DEP_3)
	v_add_f64 v[20:21], v[0:1], v[20:21]
	scratch_load_b64 v[0:1], off, off offset:204 ; 8-byte Folded Reload
	v_add_f64 v[20:21], v[14:15], v[20:21]
	s_waitcnt vmcnt(0)
	v_add_f64 v[22:23], v[22:23], -v[0:1]
	scratch_load_b64 v[0:1], off, off offset:188 ; 8-byte Folded Reload
	v_add_f64 v[22:23], v[12:13], v[22:23]
	s_waitcnt vmcnt(0)
	v_add_f64 v[24:25], v[0:1], v[24:25]
	scratch_load_b64 v[0:1], off, off offset:172 ; 8-byte Folded Reload
	v_add_f64 v[44:45], v[14:15], v[24:25]
	s_waitcnt vmcnt(0)
	v_add_f64 v[26:27], v[26:27], -v[0:1]
	scratch_load_b64 v[0:1], off, off offset:156 ; 8-byte Folded Reload
	v_add_f64 v[46:47], v[12:13], v[26:27]
	s_waitcnt vmcnt(0)
	;; [unrolled: 8-line block ×5, first 2 shown]
	v_add_f64 v[40:41], v[0:1], v[40:41]
	scratch_load_b64 v[0:1], off, off offset:60 ; 8-byte Folded Reload
	v_add_f64 v[36:37], v[14:15], v[40:41]
	v_mul_f64 v[14:15], v[148:149], s[0:1]
	v_mul_f64 v[40:41], v[110:111], s[16:17]
	s_waitcnt vmcnt(0)
	v_add_f64 v[42:43], v[42:43], -v[0:1]
	scratch_load_b64 v[0:1], off, off offset:520 ; 8-byte Folded Reload
	v_add_f64 v[38:39], v[12:13], v[42:43]
	v_mul_f64 v[12:13], v[176:177], s[20:21]
	v_mul_f64 v[42:43], v[172:173], s[20:21]
	s_delay_alu instid0(VALU_DEP_2) | instskip(NEXT) | instid1(VALU_DEP_2)
	v_add_f64 v[12:13], v[223:224], v[12:13]
	v_add_f64 v[42:43], v[42:43], -v[221:222]
	s_waitcnt vmcnt(0)
	v_add_f64 v[14:15], v[0:1], v[14:15]
	scratch_load_b64 v[0:1], off, off offset:416 ; 8-byte Folded Reload
	s_waitcnt vmcnt(0)
	v_add_f64 v[40:41], v[0:1], v[40:41]
	scratch_load_b64 v[0:1], off, off offset:512 ; 8-byte Folded Reload
	v_add_f64 v[20:21], v[40:41], v[20:21]
	v_mul_f64 v[40:41], v[229:230], s[6:7]
	s_delay_alu instid0(VALU_DEP_2) | instskip(NEXT) | instid1(VALU_DEP_2)
	v_add_f64 v[14:15], v[14:15], v[20:21]
	v_add_f64 v[40:41], v[40:41], -v[138:139]
	s_delay_alu instid0(VALU_DEP_2) | instskip(NEXT) | instid1(VALU_DEP_1)
	v_add_f64 v[12:13], v[12:13], v[14:15]
	v_add_f64 v[12:13], v[52:53], v[12:13]
	v_mul_f64 v[52:53], v[203:204], s[20:21]
	s_delay_alu instid0(VALU_DEP_2) | instskip(NEXT) | instid1(VALU_DEP_2)
	v_add_f64 v[12:13], v[56:57], v[12:13]
	v_add_f64 v[52:53], v[247:248], v[52:53]
	v_mul_f64 v[56:57], v[231:232], s[16:17]
	s_delay_alu instid0(VALU_DEP_1)
	v_add_f64 v[56:57], v[136:137], v[56:57]
	s_waitcnt vmcnt(0)
	v_add_f64 v[48:49], v[48:49], -v[0:1]
	scratch_load_b64 v[0:1], off, off offset:400 ; 8-byte Folded Reload
	s_waitcnt vmcnt(0)
	v_add_f64 v[50:51], v[50:51], -v[0:1]
	scratch_load_b64 v[0:1], off, off offset:504 ; 8-byte Folded Reload
	v_add_f64 v[22:23], v[50:51], v[22:23]
	v_mul_f64 v[50:51], v[108:109], s[10:11]
	s_delay_alu instid0(VALU_DEP_2) | instskip(SKIP_2) | instid1(VALU_DEP_3)
	v_add_f64 v[20:21], v[48:49], v[22:23]
	v_mul_f64 v[22:23], v[120:121], s[22:23]
	v_mul_f64 v[48:49], v[144:145], s[18:19]
	v_add_f64 v[14:15], v[42:43], v[20:21]
	s_delay_alu instid0(VALU_DEP_3) | instskip(SKIP_2) | instid1(VALU_DEP_4)
	v_add_f64 v[22:23], v[174:175], v[22:23]
	v_mul_f64 v[20:21], v[118:119], s[22:23]
	v_mul_f64 v[42:43], v[152:153], s[8:9]
	v_add_f64 v[14:15], v[54:55], v[14:15]
	s_delay_alu instid0(VALU_DEP_4)
	v_add_f64 v[12:13], v[22:23], v[12:13]
	v_mul_f64 v[22:23], v[148:149], s[18:19]
	v_add_f64 v[20:21], v[20:21], -v[170:171]
	v_add_f64 v[42:43], v[207:208], v[42:43]
	v_mul_f64 v[54:55], v[201:202], s[20:21]
	v_add_f64 v[14:15], v[40:41], v[14:15]
	v_mul_f64 v[40:41], v[150:151], s[8:9]
	s_delay_alu instid0(VALU_DEP_3) | instskip(NEXT) | instid1(VALU_DEP_3)
	v_add_f64 v[54:55], v[54:55], -v[245:246]
	v_add_f64 v[20:21], v[20:21], v[14:15]
	s_delay_alu instid0(VALU_DEP_3) | instskip(SKIP_2) | instid1(VALU_DEP_3)
	v_add_f64 v[40:41], v[40:41], -v[205:206]
	v_add_f64 v[14:15], v[42:43], v[12:13]
	v_mul_f64 v[42:43], v[172:173], s[22:23]
	v_add_f64 v[12:13], v[40:41], v[20:21]
	v_mul_f64 v[40:41], v[110:111], s[10:11]
	v_mul_f64 v[20:21], v[176:177], s[22:23]
	s_delay_alu instid0(VALU_DEP_4) | instskip(NEXT) | instid1(VALU_DEP_2)
	v_add_f64 v[42:43], v[42:43], -v[217:218]
	v_add_f64 v[20:21], v[219:220], v[20:21]
	s_waitcnt vmcnt(0)
	v_add_f64 v[22:23], v[0:1], v[22:23]
	scratch_load_b64 v[0:1], off, off offset:384 ; 8-byte Folded Reload
	s_waitcnt vmcnt(0)
	v_add_f64 v[40:41], v[0:1], v[40:41]
	scratch_load_b64 v[0:1], off, off offset:496 ; 8-byte Folded Reload
	v_add_f64 v[32:33], v[40:41], v[32:33]
	v_mul_f64 v[40:41], v[229:230], s[16:17]
	s_delay_alu instid0(VALU_DEP_2) | instskip(NEXT) | instid1(VALU_DEP_2)
	v_add_f64 v[22:23], v[22:23], v[32:33]
	v_add_f64 v[40:41], v[40:41], -v[134:135]
	s_delay_alu instid0(VALU_DEP_2) | instskip(NEXT) | instid1(VALU_DEP_1)
	v_add_f64 v[20:21], v[20:21], v[22:23]
	v_add_f64 v[20:21], v[52:53], v[20:21]
	v_mul_f64 v[52:53], v[203:204], s[6:7]
	s_delay_alu instid0(VALU_DEP_2) | instskip(NEXT) | instid1(VALU_DEP_2)
	v_add_f64 v[20:21], v[56:57], v[20:21]
	v_add_f64 v[52:53], v[243:244], v[52:53]
	v_mul_f64 v[56:57], v[231:232], s[0:1]
	s_delay_alu instid0(VALU_DEP_1)
	v_add_f64 v[56:57], v[132:133], v[56:57]
	s_waitcnt vmcnt(0)
	v_add_f64 v[48:49], v[48:49], -v[0:1]
	scratch_load_b64 v[0:1], off, off offset:368 ; 8-byte Folded Reload
	s_waitcnt vmcnt(0)
	v_add_f64 v[50:51], v[50:51], -v[0:1]
	scratch_load_b64 v[0:1], off, off offset:584 ; 8-byte Folded Reload
	v_add_f64 v[34:35], v[50:51], v[34:35]
	v_mul_f64 v[50:51], v[108:109], s[18:19]
	s_delay_alu instid0(VALU_DEP_2) | instskip(SKIP_2) | instid1(VALU_DEP_3)
	v_add_f64 v[32:33], v[48:49], v[34:35]
	v_mul_f64 v[34:35], v[120:121], s[8:9]
	v_mul_f64 v[48:49], v[144:145], s[22:23]
	v_add_f64 v[22:23], v[42:43], v[32:33]
	v_mul_f64 v[32:33], v[118:119], s[8:9]
	s_delay_alu instid0(VALU_DEP_4) | instskip(SKIP_1) | instid1(VALU_DEP_4)
	v_add_f64 v[34:35], v[168:169], v[34:35]
	v_mul_f64 v[42:43], v[152:153], s[0:1]
	v_add_f64 v[22:23], v[54:55], v[22:23]
	s_delay_alu instid0(VALU_DEP_4) | instskip(NEXT) | instid1(VALU_DEP_4)
	v_add_f64 v[32:33], v[32:33], -v[166:167]
	v_add_f64 v[20:21], v[34:35], v[20:21]
	s_delay_alu instid0(VALU_DEP_4) | instskip(SKIP_4) | instid1(VALU_DEP_3)
	v_add_f64 v[42:43], v[184:185], v[42:43]
	v_mul_f64 v[34:35], v[148:149], s[22:23]
	v_mul_f64 v[54:55], v[201:202], s[6:7]
	v_add_f64 v[22:23], v[40:41], v[22:23]
	v_mul_f64 v[40:41], v[150:151], s[0:1]
	v_add_f64 v[54:55], v[54:55], -v[241:242]
	s_delay_alu instid0(VALU_DEP_3) | instskip(NEXT) | instid1(VALU_DEP_3)
	v_add_f64 v[32:33], v[32:33], v[22:23]
	v_add_f64 v[40:41], v[40:41], -v[182:183]
	v_add_f64 v[22:23], v[42:43], v[20:21]
	v_mul_f64 v[42:43], v[172:173], s[16:17]
	s_delay_alu instid0(VALU_DEP_3) | instskip(SKIP_3) | instid1(VALU_DEP_2)
	v_add_f64 v[20:21], v[40:41], v[32:33]
	v_mul_f64 v[32:33], v[176:177], s[16:17]
	v_mul_f64 v[40:41], v[110:111], s[18:19]
	s_waitcnt vmcnt(0)
	v_add_f64 v[32:33], v[0:1], v[32:33]
	scratch_load_b64 v[0:1], off, off offset:488 ; 8-byte Folded Reload
	s_waitcnt vmcnt(0)
	v_add_f64 v[34:35], v[0:1], v[34:35]
	scratch_load_b64 v[0:1], off, off offset:352 ; 8-byte Folded Reload
	;; [unrolled: 3-line block ×3, first 2 shown]
	v_add_f64 v[24:25], v[40:41], v[24:25]
	v_mul_f64 v[40:41], v[229:230], s[0:1]
	s_delay_alu instid0(VALU_DEP_2) | instskip(NEXT) | instid1(VALU_DEP_2)
	v_add_f64 v[24:25], v[34:35], v[24:25]
	v_add_f64 v[40:41], v[40:41], -v[130:131]
	v_mul_f64 v[34:35], v[120:121], s[10:11]
	s_delay_alu instid0(VALU_DEP_3) | instskip(SKIP_1) | instid1(VALU_DEP_3)
	v_add_f64 v[24:25], v[32:33], v[24:25]
	v_mul_f64 v[32:33], v[118:119], s[10:11]
	v_add_f64 v[34:35], v[164:165], v[34:35]
	s_delay_alu instid0(VALU_DEP_3) | instskip(NEXT) | instid1(VALU_DEP_3)
	v_add_f64 v[24:25], v[52:53], v[24:25]
	v_add_f64 v[32:33], v[32:33], -v[162:163]
	v_mul_f64 v[52:53], v[203:204], s[8:9]
	s_delay_alu instid0(VALU_DEP_3) | instskip(SKIP_1) | instid1(VALU_DEP_3)
	v_add_f64 v[24:25], v[56:57], v[24:25]
	v_mul_f64 v[56:57], v[231:232], s[20:21]
	v_add_f64 v[52:53], v[239:240], v[52:53]
	s_delay_alu instid0(VALU_DEP_3) | instskip(SKIP_1) | instid1(VALU_DEP_4)
	v_add_f64 v[24:25], v[34:35], v[24:25]
	v_mul_f64 v[34:35], v[148:149], s[16:17]
	v_add_f64 v[56:57], v[128:129], v[56:57]
	s_waitcnt vmcnt(0)
	v_add_f64 v[42:43], v[42:43], -v[0:1]
	scratch_load_b64 v[0:1], off, off offset:480 ; 8-byte Folded Reload
	s_waitcnt vmcnt(0)
	v_add_f64 v[48:49], v[48:49], -v[0:1]
	scratch_load_b64 v[0:1], off, off offset:336 ; 8-byte Folded Reload
	;; [unrolled: 3-line block ×3, first 2 shown]
	v_add_f64 v[26:27], v[50:51], v[26:27]
	v_mul_f64 v[50:51], v[108:109], s[22:23]
	s_delay_alu instid0(VALU_DEP_2) | instskip(SKIP_1) | instid1(VALU_DEP_2)
	v_add_f64 v[26:27], v[48:49], v[26:27]
	v_mul_f64 v[48:49], v[144:145], s[16:17]
	v_add_f64 v[26:27], v[42:43], v[26:27]
	v_mul_f64 v[42:43], v[152:153], s[20:21]
	s_delay_alu instid0(VALU_DEP_2) | instskip(NEXT) | instid1(VALU_DEP_2)
	v_add_f64 v[26:27], v[54:55], v[26:27]
	v_add_f64 v[42:43], v[188:189], v[42:43]
	v_mul_f64 v[54:55], v[201:202], s[8:9]
	s_delay_alu instid0(VALU_DEP_3) | instskip(SKIP_1) | instid1(VALU_DEP_3)
	v_add_f64 v[26:27], v[40:41], v[26:27]
	v_mul_f64 v[40:41], v[150:151], s[20:21]
	v_add_f64 v[54:55], v[54:55], -v[237:238]
	s_delay_alu instid0(VALU_DEP_3) | instskip(NEXT) | instid1(VALU_DEP_3)
	v_add_f64 v[32:33], v[32:33], v[26:27]
	v_add_f64 v[40:41], v[40:41], -v[186:187]
	v_add_f64 v[26:27], v[42:43], v[24:25]
	v_mul_f64 v[42:43], v[172:173], s[0:1]
	s_delay_alu instid0(VALU_DEP_3) | instskip(SKIP_3) | instid1(VALU_DEP_2)
	v_add_f64 v[24:25], v[40:41], v[32:33]
	v_mul_f64 v[32:33], v[176:177], s[0:1]
	v_mul_f64 v[40:41], v[110:111], s[22:23]
	s_waitcnt vmcnt(0)
	v_add_f64 v[32:33], v[0:1], v[32:33]
	scratch_load_b64 v[0:1], off, off offset:472 ; 8-byte Folded Reload
	s_waitcnt vmcnt(0)
	v_add_f64 v[34:35], v[0:1], v[34:35]
	scratch_load_b64 v[0:1], off, off offset:316 ; 8-byte Folded Reload
	;; [unrolled: 3-line block ×3, first 2 shown]
	v_add_f64 v[28:29], v[40:41], v[28:29]
	v_mul_f64 v[40:41], v[229:230], s[20:21]
	s_delay_alu instid0(VALU_DEP_2) | instskip(NEXT) | instid1(VALU_DEP_2)
	v_add_f64 v[28:29], v[34:35], v[28:29]
	v_add_f64 v[40:41], v[40:41], -v[126:127]
	v_mul_f64 v[34:35], v[120:121], s[18:19]
	s_delay_alu instid0(VALU_DEP_3) | instskip(SKIP_1) | instid1(VALU_DEP_3)
	v_add_f64 v[28:29], v[32:33], v[28:29]
	v_mul_f64 v[32:33], v[118:119], s[18:19]
	v_add_f64 v[34:35], v[160:161], v[34:35]
	s_delay_alu instid0(VALU_DEP_3) | instskip(NEXT) | instid1(VALU_DEP_3)
	v_add_f64 v[28:29], v[52:53], v[28:29]
	v_add_f64 v[32:33], v[32:33], -v[158:159]
	v_mul_f64 v[52:53], v[203:204], s[22:23]
	s_delay_alu instid0(VALU_DEP_3) | instskip(SKIP_1) | instid1(VALU_DEP_3)
	v_add_f64 v[28:29], v[56:57], v[28:29]
	v_mul_f64 v[56:57], v[231:232], s[10:11]
	v_add_f64 v[52:53], v[235:236], v[52:53]
	s_delay_alu instid0(VALU_DEP_3) | instskip(SKIP_1) | instid1(VALU_DEP_4)
	v_add_f64 v[28:29], v[34:35], v[28:29]
	v_mul_f64 v[34:35], v[148:149], s[6:7]
	v_add_f64 v[56:57], v[124:125], v[56:57]
	s_waitcnt vmcnt(0)
	v_add_f64 v[42:43], v[42:43], -v[0:1]
	scratch_load_b64 v[0:1], off, off offset:464 ; 8-byte Folded Reload
	s_waitcnt vmcnt(0)
	v_add_f64 v[48:49], v[48:49], -v[0:1]
	scratch_load_b64 v[0:1], off, off offset:300 ; 8-byte Folded Reload
	s_waitcnt vmcnt(0)
	v_add_f64 v[50:51], v[50:51], -v[0:1]
	scratch_load_b64 v[0:1], off, off offset:552 ; 8-byte Folded Reload
	v_add_f64 v[30:31], v[50:51], v[30:31]
	v_mul_f64 v[50:51], v[108:109], s[20:21]
	s_delay_alu instid0(VALU_DEP_2) | instskip(SKIP_1) | instid1(VALU_DEP_2)
	v_add_f64 v[30:31], v[48:49], v[30:31]
	v_mul_f64 v[48:49], v[144:145], s[6:7]
	v_add_f64 v[30:31], v[42:43], v[30:31]
	v_mul_f64 v[42:43], v[152:153], s[6:7]
	s_delay_alu instid0(VALU_DEP_2) | instskip(NEXT) | instid1(VALU_DEP_2)
	v_add_f64 v[30:31], v[54:55], v[30:31]
	v_add_f64 v[42:43], v[192:193], v[42:43]
	v_mul_f64 v[54:55], v[201:202], s[22:23]
	s_delay_alu instid0(VALU_DEP_3) | instskip(SKIP_1) | instid1(VALU_DEP_3)
	v_add_f64 v[30:31], v[40:41], v[30:31]
	v_mul_f64 v[40:41], v[150:151], s[6:7]
	v_add_f64 v[54:55], v[54:55], -v[233:234]
	s_delay_alu instid0(VALU_DEP_3) | instskip(NEXT) | instid1(VALU_DEP_3)
	v_add_f64 v[32:33], v[32:33], v[30:31]
	v_add_f64 v[40:41], v[40:41], -v[190:191]
	v_add_f64 v[30:31], v[42:43], v[28:29]
	v_mul_f64 v[42:43], v[172:173], s[8:9]
	s_delay_alu instid0(VALU_DEP_3) | instskip(SKIP_3) | instid1(VALU_DEP_2)
	v_add_f64 v[28:29], v[40:41], v[32:33]
	v_mul_f64 v[32:33], v[176:177], s[8:9]
	v_mul_f64 v[40:41], v[110:111], s[20:21]
	s_waitcnt vmcnt(0)
	v_add_f64 v[32:33], v[0:1], v[32:33]
	scratch_load_b64 v[0:1], off, off offset:456 ; 8-byte Folded Reload
	s_waitcnt vmcnt(0)
	v_add_f64 v[34:35], v[0:1], v[34:35]
	scratch_load_b64 v[0:1], off, off offset:284 ; 8-byte Folded Reload
	;; [unrolled: 3-line block ×3, first 2 shown]
	v_add_f64 v[40:41], v[40:41], v[44:45]
	s_delay_alu instid0(VALU_DEP_1) | instskip(NEXT) | instid1(VALU_DEP_1)
	v_add_f64 v[34:35], v[34:35], v[40:41]
	v_add_f64 v[32:33], v[32:33], v[34:35]
	s_delay_alu instid0(VALU_DEP_1) | instskip(SKIP_1) | instid1(VALU_DEP_2)
	v_add_f64 v[32:33], v[52:53], v[32:33]
	v_mul_f64 v[52:53], v[203:204], s[16:17]
	v_add_f64 v[32:33], v[56:57], v[32:33]
	s_delay_alu instid0(VALU_DEP_2) | instskip(SKIP_1) | instid1(VALU_DEP_1)
	v_add_f64 v[52:53], v[227:228], v[52:53]
	v_mul_f64 v[56:57], v[231:232], s[18:19]
	v_add_f64 v[56:57], v[116:117], v[56:57]
	s_waitcnt vmcnt(0)
	v_add_f64 v[42:43], v[42:43], -v[0:1]
	scratch_load_b64 v[0:1], off, off offset:448 ; 8-byte Folded Reload
	s_waitcnt vmcnt(0)
	v_add_f64 v[48:49], v[48:49], -v[0:1]
	scratch_load_b64 v[0:1], off, off offset:268 ; 8-byte Folded Reload
	;; [unrolled: 3-line block ×3, first 2 shown]
	v_add_f64 v[44:45], v[50:51], v[46:47]
	v_mul_f64 v[46:47], v[229:230], s[10:11]
	v_mul_f64 v[50:51], v[172:173], s[10:11]
	s_delay_alu instid0(VALU_DEP_3) | instskip(NEXT) | instid1(VALU_DEP_3)
	v_add_f64 v[40:41], v[48:49], v[44:45]
	v_add_f64 v[46:47], v[46:47], -v[122:123]
	v_mul_f64 v[44:45], v[120:121], s[0:1]
	v_mul_f64 v[48:49], v[144:145], s[8:9]
	s_delay_alu instid0(VALU_DEP_4) | instskip(SKIP_1) | instid1(VALU_DEP_4)
	v_add_f64 v[34:35], v[42:43], v[40:41]
	v_mul_f64 v[40:41], v[118:119], s[0:1]
	v_add_f64 v[44:45], v[156:157], v[44:45]
	v_mul_f64 v[42:43], v[152:153], s[18:19]
	s_delay_alu instid0(VALU_DEP_4) | instskip(NEXT) | instid1(VALU_DEP_4)
	v_add_f64 v[34:35], v[54:55], v[34:35]
	v_add_f64 v[40:41], v[40:41], -v[154:155]
	s_delay_alu instid0(VALU_DEP_4) | instskip(NEXT) | instid1(VALU_DEP_4)
	v_add_f64 v[32:33], v[44:45], v[32:33]
	v_add_f64 v[42:43], v[196:197], v[42:43]
	v_mul_f64 v[44:45], v[110:111], s[6:7]
	v_mul_f64 v[54:55], v[201:202], s[16:17]
	v_add_f64 v[34:35], v[46:47], v[34:35]
	v_mul_f64 v[46:47], v[150:151], s[18:19]
	s_delay_alu instid0(VALU_DEP_3) | instskip(NEXT) | instid1(VALU_DEP_3)
	v_add_f64 v[54:55], v[54:55], -v[225:226]
	v_add_f64 v[40:41], v[40:41], v[34:35]
	s_delay_alu instid0(VALU_DEP_3) | instskip(SKIP_2) | instid1(VALU_DEP_3)
	v_add_f64 v[46:47], v[46:47], -v[194:195]
	v_add_f64 v[34:35], v[42:43], v[32:33]
	v_mul_f64 v[42:43], v[148:149], s[8:9]
	v_add_f64 v[32:33], v[46:47], v[40:41]
	v_mul_f64 v[40:41], v[176:177], s[10:11]
	v_mul_f64 v[46:47], v[108:109], s[6:7]
	s_waitcnt vmcnt(0)
	s_delay_alu instid0(VALU_DEP_2)
	v_add_f64 v[40:41], v[0:1], v[40:41]
	scratch_load_b64 v[0:1], off, off offset:440 ; 8-byte Folded Reload
	s_waitcnt vmcnt(0)
	v_add_f64 v[42:43], v[0:1], v[42:43]
	scratch_load_b64 v[0:1], off, off offset:252 ; 8-byte Folded Reload
	s_waitcnt vmcnt(0)
	v_add_f64 v[44:45], v[0:1], v[44:45]
	scratch_load_b64 v[0:1], off, off offset:236 ; 8-byte Folded Reload
	v_add_f64 v[36:37], v[44:45], v[36:37]
	v_mul_f64 v[44:45], v[229:230], s[18:19]
	s_delay_alu instid0(VALU_DEP_2) | instskip(NEXT) | instid1(VALU_DEP_2)
	v_add_f64 v[36:37], v[42:43], v[36:37]
	v_add_f64 v[44:45], v[44:45], -v[253:254]
	v_mul_f64 v[42:43], v[120:121], s[20:21]
	s_delay_alu instid0(VALU_DEP_3) | instskip(SKIP_1) | instid1(VALU_DEP_3)
	v_add_f64 v[36:37], v[40:41], v[36:37]
	v_mul_f64 v[40:41], v[118:119], s[20:21]
	v_add_f64 v[42:43], v[146:147], v[42:43]
	s_delay_alu instid0(VALU_DEP_3) | instskip(NEXT) | instid1(VALU_DEP_3)
	v_add_f64 v[36:37], v[52:53], v[36:37]
	v_add_f64 v[40:41], v[40:41], -v[142:143]
	s_delay_alu instid0(VALU_DEP_2) | instskip(NEXT) | instid1(VALU_DEP_1)
	v_add_f64 v[36:37], v[56:57], v[36:37]
	v_add_f64 v[36:37], v[42:43], v[36:37]
	s_waitcnt vmcnt(0)
	v_add_f64 v[46:47], v[46:47], -v[0:1]
	scratch_load_b64 v[0:1], off, off offset:432 ; 8-byte Folded Reload
	v_add_f64 v[38:39], v[46:47], v[38:39]
	v_mul_f64 v[46:47], v[152:153], s[22:23]
	s_delay_alu instid0(VALU_DEP_1)
	v_add_f64 v[46:47], v[180:181], v[46:47]
	s_waitcnt vmcnt(0)
	v_add_f64 v[48:49], v[48:49], -v[0:1]
	scratch_load_b64 v[0:1], off, off offset:528 ; 8-byte Folded Reload
	v_add_f64 v[38:39], v[48:49], v[38:39]
	s_waitcnt vmcnt(0)
	v_add_f64 v[50:51], v[50:51], -v[0:1]
	v_mul_lo_u16 v0, v6, 17
	s_delay_alu instid0(VALU_DEP_1) | instskip(NEXT) | instid1(VALU_DEP_1)
	v_and_b32_e32 v0, 0xffff, v0
	v_lshlrev_b32_e32 v0, 4, v0
	s_delay_alu instid0(VALU_DEP_4) | instskip(NEXT) | instid1(VALU_DEP_1)
	v_add_f64 v[38:39], v[50:51], v[38:39]
	v_add_f64 v[38:39], v[54:55], v[38:39]
	s_delay_alu instid0(VALU_DEP_1) | instskip(SKIP_1) | instid1(VALU_DEP_2)
	v_add_f64 v[38:39], v[44:45], v[38:39]
	v_mul_f64 v[44:45], v[150:151], s[22:23]
	v_add_f64 v[40:41], v[40:41], v[38:39]
	s_delay_alu instid0(VALU_DEP_2) | instskip(SKIP_1) | instid1(VALU_DEP_2)
	v_add_f64 v[44:45], v[44:45], -v[178:179]
	v_add_f64 v[38:39], v[46:47], v[36:37]
	v_add_f64 v[36:37], v[44:45], v[40:41]
	ds_store_b128 v0, v[20:23] offset:32
	ds_store_b128 v0, v[24:27] offset:48
	;; [unrolled: 1-line block ×6, first 2 shown]
	ds_store_b128 v0, v[16:19]
	ds_store_b128 v0, v[100:103] offset:128
	ds_store_b128 v0, v[104:107] offset:144
	;; [unrolled: 1-line block ×6, first 2 shown]
	scratch_load_b128 v[1:4], off, off offset:44 ; 16-byte Folded Reload
	s_waitcnt vmcnt(0)
	ds_store_b128 v0, v[1:4] offset:224
	scratch_load_b128 v[1:4], off, off offset:28 ; 16-byte Folded Reload
	s_waitcnt vmcnt(0)
	ds_store_b128 v0, v[1:4] offset:240
	ds_store_b128 v0, v[84:87] offset:112
	scratch_load_b128 v[1:4], off, off offset:12 ; 16-byte Folded Reload
	s_waitcnt vmcnt(0)
	ds_store_b128 v0, v[1:4] offset:256
.LBB0_7:
	s_or_b32 exec_lo, exec_lo, s24
	s_waitcnt lgkmcnt(0)
	s_waitcnt_vscnt null, 0x0
	s_barrier
	buffer_gl0_inv
	ds_load_b128 v[40:43], v255
	ds_load_b128 v[108:111], v255 offset:3536
	ds_load_b128 v[76:79], v255 offset:7072
	;; [unrolled: 1-line block ×6, first 2 shown]
	v_cmp_gt_u16_e64 s0, 0x66, v6
	s_delay_alu instid0(VALU_DEP_1)
	s_and_saveexec_b32 s1, s0
	s_cbranch_execz .LBB0_9
; %bb.8:
	ds_load_b128 v[84:87], v255 offset:1904
	ds_load_b128 v[100:103], v255 offset:5440
	;; [unrolled: 1-line block ×7, first 2 shown]
.LBB0_9:
	s_or_b32 exec_lo, exec_lo, s1
	v_and_b32_e32 v0, 0xff, v6
	v_add_nc_u16 v1, v6, 0x77
	s_mov_b32 s6, 0x37e14327
	s_mov_b32 s16, 0xe976ee23
	;; [unrolled: 1-line block ×3, first 2 shown]
	v_mul_lo_u16 v0, 0xf1, v0
	v_and_b32_e32 v2, 0xff, v1
	s_mov_b32 s22, 0xb247c609
	s_mov_b32 s7, 0x3fe948f6
	;; [unrolled: 1-line block ×3, first 2 shown]
	v_lshrrev_b16 v0, 12, v0
	v_mul_lo_u16 v2, 0xf1, v2
	s_mov_b32 s9, 0x3febfeb5
	s_mov_b32 s23, 0x3fd5d0dc
	;; [unrolled: 1-line block ×3, first 2 shown]
	v_mul_lo_u16 v3, v0, 17
	v_lshrrev_b16 v2, 12, v2
	s_mov_b32 s11, 0x3fac98ee
	s_mov_b32 s18, 0x5476071b
	s_mov_b32 s19, 0x3fe77f67
	v_sub_nc_u16 v3, v6, v3
	v_mul_lo_u16 v4, v2, 17
	s_mov_b32 s21, 0xbfe77f67
	s_mov_b32 s25, 0xbfd5d0dc
	;; [unrolled: 1-line block ×3, first 2 shown]
	v_and_b32_e32 v3, 0xff, v3
	v_sub_nc_u16 v1, v1, v4
	s_mov_b32 s24, s22
	v_and_b32_e32 v0, 0xffff, v0
	s_delay_alu instid0(VALU_DEP_3) | instskip(NEXT) | instid1(VALU_DEP_3)
	v_mul_u32_u24_e32 v5, 6, v3
	v_and_b32_e32 v1, 0xff, v1
	s_delay_alu instid0(VALU_DEP_3) | instskip(NEXT) | instid1(VALU_DEP_3)
	v_mul_u32_u24_e32 v0, 0x77, v0
	v_lshlrev_b32_e32 v4, 4, v5
	s_clause 0x1
	global_load_b128 v[68:71], v4, s[2:3]
	global_load_b128 v[48:51], v4, s[2:3] offset:16
	scratch_store_b32 off, v1, off offset:60 ; 4-byte Folded Spill
	v_mul_u32_u24_e32 v1, 6, v1
	s_clause 0x1
	global_load_b128 v[52:55], v4, s[2:3] offset:80
	global_load_b128 v[44:47], v4, s[2:3] offset:64
	v_lshlrev_b32_e32 v1, 4, v1
	s_clause 0x7
	global_load_b128 v[20:23], v1, s[2:3]
	global_load_b128 v[7:10], v1, s[2:3] offset:16
	global_load_b128 v[24:27], v1, s[2:3] offset:80
	;; [unrolled: 1-line block ×7, first 2 shown]
	s_waitcnt vmcnt(11) lgkmcnt(5)
	v_mul_f64 v[12:13], v[110:111], v[70:71]
	v_mul_f64 v[14:15], v[108:109], v[70:71]
	s_waitcnt vmcnt(10) lgkmcnt(4)
	v_mul_f64 v[16:17], v[78:79], v[50:51]
	v_mul_f64 v[18:19], v[76:77], v[50:51]
	;; [unrolled: 3-line block ×3, first 2 shown]
	s_waitcnt vmcnt(8)
	v_mul_f64 v[120:121], v[66:67], v[46:47]
	v_mul_f64 v[122:123], v[64:65], v[46:47]
	s_waitcnt vmcnt(7)
	v_mul_f64 v[124:125], v[102:103], v[22:23]
	v_mul_f64 v[126:127], v[100:101], v[22:23]
	;; [unrolled: 3-line block ×7, first 2 shown]
	s_clause 0x8
	scratch_store_b128 off, v[7:10], off offset:336
	scratch_store_b128 off, v[148:151], off offset:220
	scratch_store_b128 off, v[68:71], off offset:132
	scratch_store_b128 off, v[52:55], off offset:116
	scratch_store_b128 off, v[48:51], off offset:100
	scratch_store_b128 off, v[44:47], off offset:68
	scratch_store_b128 off, v[20:23], off offset:352
	scratch_store_b128 off, v[24:27], off offset:368
	scratch_store_b128 off, v[36:39], off offset:416
	s_waitcnt vmcnt(1)
	scratch_store_b128 off, v[32:35], off offset:400 ; 16-byte Folded Spill
	s_waitcnt vmcnt(0)
	scratch_store_b128 off, v[28:31], off offset:384 ; 16-byte Folded Spill
	v_fma_f64 v[108:109], v[108:109], v[68:69], -v[12:13]
	v_fma_f64 v[110:111], v[110:111], v[68:69], v[14:15]
	v_fma_f64 v[16:17], v[76:77], v[48:49], -v[16:17]
	v_fma_f64 v[18:19], v[78:79], v[48:49], v[18:19]
	v_fma_f64 v[76:77], v[112:113], v[52:53], -v[116:117]
	v_fma_f64 v[78:79], v[114:115], v[52:53], v[118:119]
	v_fma_f64 v[64:65], v[64:65], v[44:45], -v[120:121]
	v_fma_f64 v[66:67], v[66:67], v[44:45], v[122:123]
	v_mul_f64 v[12:13], v[98:99], v[34:35]
	v_mul_f64 v[14:15], v[96:97], v[34:35]
	;; [unrolled: 1-line block ×4, first 2 shown]
	v_fma_f64 v[100:101], v[100:101], v[20:21], -v[124:125]
	v_fma_f64 v[102:103], v[102:103], v[20:21], v[126:127]
	v_fma_f64 v[104:105], v[104:105], v[7:8], -v[128:129]
	v_fma_f64 v[106:107], v[106:107], v[7:8], v[130:131]
	;; [unrolled: 2-line block ×6, first 2 shown]
	v_add_f64 v[120:121], v[108:109], v[76:77]
	v_add_f64 v[122:123], v[110:111], v[78:79]
	;; [unrolled: 1-line block ×4, first 2 shown]
	v_fma_f64 v[96:97], v[96:97], v[32:33], -v[12:13]
	v_fma_f64 v[98:99], v[98:99], v[32:33], v[14:15]
	v_fma_f64 v[92:93], v[92:93], v[28:29], -v[112:113]
	v_fma_f64 v[94:95], v[94:95], v[28:29], v[114:115]
	v_add_f64 v[16:17], v[16:17], -v[64:65]
	v_add_f64 v[18:19], v[18:19], -v[66:67]
	;; [unrolled: 1-line block ×4, first 2 shown]
	v_add_f64 v[12:13], v[100:101], v[80:81]
	v_add_f64 v[56:57], v[102:103], v[82:83]
	v_add_f64 v[14:15], v[104:105], v[88:89]
	v_add_f64 v[58:59], v[106:107], v[90:91]
	v_add_f64 v[112:113], v[60:61], v[116:117]
	v_add_f64 v[114:115], v[62:63], v[118:119]
	v_add_f64 v[116:117], v[116:117], -v[60:61]
	v_add_f64 v[118:119], v[118:119], -v[62:63]
	;; [unrolled: 1-line block ×4, first 2 shown]
	v_add_f64 v[64:65], v[124:125], v[120:121]
	v_add_f64 v[66:67], v[126:127], v[122:123]
	;; [unrolled: 1-line block ×4, first 2 shown]
	v_add_f64 v[82:83], v[92:93], -v[96:97]
	v_add_f64 v[96:97], v[94:95], -v[98:99]
	;; [unrolled: 1-line block ×4, first 2 shown]
	v_add_f64 v[78:79], v[14:15], v[12:13]
	v_add_f64 v[92:93], v[58:59], v[56:57]
	v_add_f64 v[94:95], v[120:121], -v[112:113]
	v_add_f64 v[98:99], v[122:123], -v[114:115]
	;; [unrolled: 1-line block ×6, first 2 shown]
	v_add_f64 v[16:17], v[116:117], v[16:17]
	v_add_f64 v[18:19], v[118:119], v[18:19]
	v_add_f64 v[116:117], v[108:109], -v[116:117]
	v_add_f64 v[118:119], v[110:111], -v[118:119]
	v_add_f64 v[132:133], v[112:113], v[64:65]
	v_add_f64 v[134:135], v[114:115], v[66:67]
	v_add_f64 v[66:67], v[104:105], -v[88:89]
	v_add_f64 v[64:65], v[106:107], -v[90:91]
	;; [unrolled: 1-line block ×8, first 2 shown]
	v_mul_f64 v[126:127], v[128:129], s[8:9]
	v_mul_f64 v[146:147], v[130:131], s[8:9]
	v_add_f64 v[142:143], v[76:77], v[78:79]
	v_add_f64 v[144:145], v[80:81], v[92:93]
	v_add_f64 v[78:79], v[76:77], -v[14:15]
	v_add_f64 v[92:93], v[80:81], -v[58:59]
	v_mul_f64 v[124:125], v[94:95], s[6:7]
	v_mul_f64 v[98:99], v[98:99], s[6:7]
	;; [unrolled: 1-line block ×4, first 2 shown]
	v_add_f64 v[16:17], v[16:17], v[108:109]
	v_add_f64 v[18:19], v[18:19], v[110:111]
	;; [unrolled: 1-line block ×6, first 2 shown]
	v_add_f64 v[94:95], v[82:83], -v[66:67]
	v_add_f64 v[88:89], v[96:97], -v[64:65]
	v_mul_f64 v[76:77], v[90:91], s[6:7]
	v_mul_f64 v[82:83], v[136:137], s[6:7]
	v_mul_f64 v[90:91], v[138:139], s[22:23]
	v_mul_f64 v[80:81], v[140:141], s[22:23]
	v_mul_f64 v[152:153], v[104:105], s[10:11]
	v_mul_f64 v[154:155], v[106:107], s[10:11]
	v_add_f64 v[40:41], v[84:85], v[142:143]
	v_add_f64 v[42:43], v[86:87], v[144:145]
	s_mov_b32 s6, 0xaaaaaaaa
	s_mov_b32 s7, 0xbff2aaaa
	v_fma_f64 v[84:85], v[104:105], s[10:11], v[124:125]
	v_fma_f64 v[86:87], v[106:107], s[10:11], v[98:99]
	;; [unrolled: 1-line block ×4, first 2 shown]
	v_fma_f64 v[100:101], v[128:129], s[8:9], -v[100:101]
	v_fma_f64 v[128:129], v[130:131], s[8:9], -v[102:103]
	v_fma_f64 v[116:117], v[116:117], s[24:25], -v[126:127]
	v_fma_f64 v[98:99], v[122:123], s[20:21], -v[98:99]
	v_fma_f64 v[118:119], v[118:119], s[24:25], -v[146:147]
	v_fma_f64 v[124:125], v[120:121], s[20:21], -v[124:125]
	s_mov_b32 s22, 0x37c3f68c
	s_mov_b32 s23, 0x3fdc38aa
	v_fma_f64 v[126:127], v[132:133], s[6:7], v[112:113]
	v_fma_f64 v[130:131], v[134:135], s[6:7], v[114:115]
	v_add_f64 v[106:107], v[148:149], v[62:63]
	v_add_f64 v[104:105], v[150:151], v[60:61]
	v_fma_f64 v[132:133], v[78:79], s[10:11], v[76:77]
	v_fma_f64 v[134:135], v[92:93], s[10:11], v[82:83]
	;; [unrolled: 1-line block ×4, first 2 shown]
	v_fma_f64 v[120:121], v[120:121], s[18:19], -v[152:153]
	v_fma_f64 v[122:123], v[122:123], s[18:19], -v[154:155]
	v_fma_f64 v[96:97], v[142:143], s[6:7], v[40:41]
	v_fma_f64 v[102:103], v[144:145], s[6:7], v[42:43]
	s_load_b128 s[4:7], s[4:5], 0x0
	v_fma_f64 v[108:109], v[16:17], s[22:23], v[108:109]
	v_fma_f64 v[110:111], v[18:19], s[22:23], v[110:111]
	v_fma_f64 v[140:141], v[16:17], s[22:23], v[100:101]
	v_fma_f64 v[128:129], v[18:19], s[22:23], v[128:129]
	v_fma_f64 v[16:17], v[16:17], s[22:23], v[116:117]
	v_fma_f64 v[18:19], v[18:19], s[22:23], v[118:119]
	v_add_f64 v[142:143], v[84:85], v[126:127]
	v_add_f64 v[144:145], v[86:87], v[130:131]
	;; [unrolled: 1-line block ×4, first 2 shown]
	v_fma_f64 v[98:99], v[106:107], s[22:23], v[136:137]
	v_fma_f64 v[84:85], v[104:105], s[22:23], v[138:139]
	v_add_f64 v[150:151], v[120:121], v[126:127]
	v_add_f64 v[130:131], v[122:123], v[130:131]
	;; [unrolled: 1-line block ×5, first 2 shown]
	v_add_f64 v[118:119], v[144:145], -v[108:109]
	v_add_f64 v[136:137], v[142:143], -v[110:111]
	v_add_f64 v[138:139], v[108:109], v[144:145]
	v_add_f64 v[120:121], v[18:19], v[146:147]
	v_add_f64 v[122:123], v[148:149], -v[16:17]
	v_add_f64 v[132:133], v[146:147], -v[18:19]
	v_add_f64 v[134:135], v[16:17], v[148:149]
	v_add_lshl_u32 v16, v0, v3, 4
	v_and_b32_e32 v0, 0xffff, v2
	v_add_f64 v[124:125], v[150:151], -v[128:129]
	v_add_f64 v[126:127], v[140:141], v[130:131]
	v_add_f64 v[108:109], v[86:87], -v[84:85]
	v_add_f64 v[110:111], v[98:99], v[100:101]
	v_add_f64 v[128:129], v[128:129], v[150:151]
	v_add_f64 v[130:131], v[130:131], -v[140:141]
	s_clause 0x1
	scratch_store_b128 off, v[72:75], off offset:204
	scratch_store_b32 off, v0, off offset:148
	s_waitcnt lgkmcnt(0)
	s_waitcnt_vscnt null, 0x0
	s_barrier
	buffer_gl0_inv
	ds_store_b128 v16, v[112:115]
	ds_store_b128 v16, v[116:119] offset:272
	ds_store_b128 v16, v[120:123] offset:544
	;; [unrolled: 1-line block ×6, first 2 shown]
	s_and_saveexec_b32 s1, s0
	s_cbranch_execz .LBB0_11
; %bb.10:
	s_clause 0x1
	scratch_load_b32 v0, off, off offset:148
	scratch_load_b32 v1, off, off offset:60
	v_add_f64 v[17:18], v[66:67], -v[62:63]
	v_add_f64 v[56:57], v[58:59], -v[56:57]
	v_mul_f64 v[58:59], v[92:93], s[10:11]
	v_mul_f64 v[62:63], v[94:95], s[16:17]
	v_add_f64 v[12:13], v[14:15], -v[12:13]
	v_add_f64 v[14:15], v[64:65], -v[60:61]
	v_mul_f64 v[60:61], v[78:79], s[10:11]
	v_mul_f64 v[64:65], v[88:89], s[16:17]
	s_mov_b32 s11, 0xbfebfeb5
	s_mov_b32 s10, s8
	v_mul_f64 v[66:67], v[106:107], s[22:23]
	v_mul_f64 v[78:79], v[104:105], s[22:23]
	v_fma_f64 v[88:89], v[17:18], s[10:11], -v[90:91]
	v_fma_f64 v[82:83], v[56:57], s[20:21], -v[82:83]
	;; [unrolled: 1-line block ×8, first 2 shown]
	v_add_f64 v[60:61], v[66:67], v[88:89]
	v_add_f64 v[64:65], v[82:83], v[102:103]
	;; [unrolled: 1-line block ×8, first 2 shown]
	v_add_f64 v[14:15], v[100:101], -v[98:99]
	v_add_f64 v[12:13], v[84:85], v[86:87]
	v_add_f64 v[78:79], v[64:65], -v[60:61]
	v_add_f64 v[58:59], v[60:61], v[64:65]
	v_add_f64 v[66:67], v[17:18], v[56:57]
	v_add_f64 v[62:63], v[56:57], -v[17:18]
	v_add_f64 v[76:77], v[82:83], v[80:81]
	v_add_f64 v[56:57], v[80:81], -v[82:83]
	v_add_f64 v[64:65], v[88:89], -v[90:91]
	v_add_f64 v[60:61], v[90:91], v[88:89]
	s_waitcnt vmcnt(1)
	v_mul_u32_u24_e32 v0, 0x77, v0
	s_waitcnt vmcnt(0)
	s_delay_alu instid0(VALU_DEP_1)
	v_add_lshl_u32 v0, v0, v1, 4
	ds_store_b128 v0, v[40:43]
	ds_store_b128 v0, v[12:15] offset:272
	ds_store_b128 v0, v[76:79] offset:544
	;; [unrolled: 1-line block ×6, first 2 shown]
.LBB0_11:
	s_or_b32 exec_lo, exec_lo, s1
	v_mad_u64_u32 v[104:105], null, 0xc0, v6, s[2:3]
	s_waitcnt lgkmcnt(0)
	s_barrier
	buffer_gl0_inv
	s_mov_b32 s26, 0x24c2f84
	s_mov_b32 s27, 0xbfe5384d
	s_mov_b32 s28, 0x42a4c3d2
	s_clause 0x3
	global_load_b128 v[0:3], v[104:105], off offset:1632
	global_load_b128 v[4:7], v[104:105], off offset:1808
	;; [unrolled: 1-line block ×4, first 2 shown]
	ds_load_b128 v[80:83], v255 offset:1904
	ds_load_b128 v[76:79], v255 offset:22848
	ds_load_b128 v[116:119], v255
	ds_load_b128 v[84:87], v255 offset:3808
	ds_load_b128 v[88:91], v255 offset:5712
	s_mov_b32 s30, 0x66966769
	s_mov_b32 s22, 0x2ef20147
	;; [unrolled: 1-line block ×27, first 2 shown]
	s_waitcnt vmcnt(3) lgkmcnt(4)
	v_mul_f64 v[14:15], v[80:81], v[2:3]
	s_waitcnt vmcnt(2) lgkmcnt(3)
	v_mul_f64 v[92:93], v[78:79], v[6:7]
	v_mul_f64 v[12:13], v[82:83], v[2:3]
	;; [unrolled: 1-line block ×3, first 2 shown]
	s_clause 0x1
	scratch_store_b128 off, v[0:3], off offset:84
	scratch_store_b128 off, v[4:7], off offset:156
	s_waitcnt vmcnt(1)
	scratch_store_b128 off, v[8:11], off offset:172 ; 16-byte Folded Spill
	v_fma_f64 v[130:131], v[82:83], v[0:1], v[14:15]
	v_fma_f64 v[14:15], v[76:77], v[4:5], -v[92:93]
	s_waitcnt lgkmcnt(1)
	v_mul_f64 v[76:77], v[84:85], v[10:11]
	v_fma_f64 v[128:129], v[80:81], v[0:1], -v[12:13]
	v_fma_f64 v[12:13], v[78:79], v[4:5], v[17:18]
	v_mul_f64 v[17:18], v[86:87], v[10:11]
	v_add_f64 v[202:203], v[118:119], v[130:131]
	v_fma_f64 v[166:167], v[86:87], v[8:9], v[76:77]
	ds_load_b128 v[76:79], v255 offset:20944
	ds_load_b128 v[92:95], v255 offset:19040
	s_waitcnt vmcnt(0)
	scratch_store_b128 off, v[19:22], off offset:188 ; 16-byte Folded Spill
	s_clause 0x1
	global_load_b128 v[4:7], v[104:105], off offset:1664
	global_load_b128 v[0:3], v[104:105], off offset:1680
	v_fma_f64 v[164:165], v[84:85], v[8:9], -v[17:18]
	v_add_f64 v[134:135], v[128:129], v[14:15]
	v_add_f64 v[156:157], v[130:131], v[12:13]
	;; [unrolled: 1-line block ×3, first 2 shown]
	s_waitcnt lgkmcnt(1)
	v_mul_f64 v[17:18], v[76:77], v[21:22]
	s_delay_alu instid0(VALU_DEP_1) | instskip(SKIP_1) | instid1(VALU_DEP_1)
	v_fma_f64 v[112:113], v[78:79], v[19:20], v[17:18]
	v_mul_f64 v[17:18], v[78:79], v[21:22]
	v_fma_f64 v[114:115], v[76:77], v[19:20], -v[17:18]
	s_delay_alu instid0(VALU_DEP_1) | instskip(NEXT) | instid1(VALU_DEP_1)
	v_add_f64 v[226:227], v[164:165], -v[114:115]
	v_mul_f64 v[59:60], v[226:227], s[38:39]
	v_mul_f64 v[79:80], v[226:227], s[36:37]
	s_waitcnt vmcnt(1)
	v_mul_f64 v[17:18], v[90:91], v[6:7]
	scratch_store_b128 off, v[4:7], off offset:252 ; 16-byte Folded Spill
	v_fma_f64 v[172:173], v[88:89], v[4:5], -v[17:18]
	v_mul_f64 v[17:18], v[88:89], v[6:7]
	s_delay_alu instid0(VALU_DEP_1)
	v_fma_f64 v[174:175], v[90:91], v[4:5], v[17:18]
	s_clause 0x1
	global_load_b128 v[8:11], v[104:105], off offset:1776
	global_load_b128 v[4:7], v[104:105], off offset:1760
	s_waitcnt vmcnt(1) lgkmcnt(0)
	v_mul_f64 v[17:18], v[92:93], v[10:11]
	scratch_store_b128 off, v[8:11], off offset:284 ; 16-byte Folded Spill
	v_fma_f64 v[168:169], v[94:95], v[8:9], v[17:18]
	v_mul_f64 v[17:18], v[94:95], v[10:11]
	s_delay_alu instid0(VALU_DEP_2) | instskip(NEXT) | instid1(VALU_DEP_2)
	v_add_f64 v[228:229], v[174:175], -v[168:169]
	v_fma_f64 v[170:171], v[92:93], v[8:9], -v[17:18]
	ds_load_b128 v[92:95], v255 offset:7616
	ds_load_b128 v[100:103], v255 offset:9520
	scratch_store_b128 off, v[0:3], off offset:236 ; 16-byte Folded Spill
	s_waitcnt lgkmcnt(1)
	v_mul_f64 v[17:18], v[92:93], v[2:3]
	v_mul_f64 v[83:84], v[228:229], s[28:29]
	v_add_f64 v[238:239], v[172:173], -v[170:171]
	s_delay_alu instid0(VALU_DEP_3) | instskip(SKIP_1) | instid1(VALU_DEP_3)
	v_fma_f64 v[180:181], v[94:95], v[0:1], v[17:18]
	v_mul_f64 v[17:18], v[94:95], v[2:3]
	v_mul_f64 v[43:44], v[238:239], s[40:41]
	s_delay_alu instid0(VALU_DEP_2)
	v_fma_f64 v[182:183], v[92:93], v[0:1], -v[17:18]
	ds_load_b128 v[92:95], v255 offset:17136
	ds_load_b128 v[120:123], v255 offset:15232
	s_waitcnt vmcnt(0)
	scratch_store_b128 off, v[4:7], off offset:268 ; 16-byte Folded Spill
	s_waitcnt lgkmcnt(1)
	v_mul_f64 v[17:18], v[92:93], v[6:7]
	s_delay_alu instid0(VALU_DEP_1) | instskip(SKIP_1) | instid1(VALU_DEP_2)
	v_fma_f64 v[176:177], v[94:95], v[4:5], v[17:18]
	v_mul_f64 v[17:18], v[94:95], v[6:7]
	v_add_f64 v[240:241], v[180:181], -v[176:177]
	s_delay_alu instid0(VALU_DEP_2)
	v_fma_f64 v[178:179], v[92:93], v[4:5], -v[17:18]
	s_clause 0x1
	global_load_b128 v[4:7], v[104:105], off offset:1696
	global_load_b128 v[0:3], v[104:105], off offset:1712
	v_add_f64 v[244:245], v[180:181], v[176:177]
	v_mul_f64 v[224:225], v[240:241], s[22:23]
	v_add_f64 v[222:223], v[182:183], v[178:179]
	v_add_f64 v[242:243], v[182:183], -v[178:179]
	v_mul_f64 v[8:9], v[240:241], s[38:39]
	v_mul_f64 v[67:68], v[240:241], s[30:31]
	s_delay_alu instid0(VALU_DEP_3) | instskip(NEXT) | instid1(VALU_DEP_3)
	v_mul_f64 v[246:247], v[242:243], s[22:23]
	v_fma_f64 v[10:11], v[222:223], s[8:9], -v[8:9]
	s_delay_alu instid0(VALU_DEP_3)
	v_fma_f64 v[69:70], v[222:223], s[18:19], -v[67:68]
	s_waitcnt vmcnt(1)
	v_mul_f64 v[17:18], v[102:103], v[6:7]
	scratch_store_b128 off, v[4:7], off offset:316 ; 16-byte Folded Spill
	v_fma_f64 v[184:185], v[100:101], v[4:5], -v[17:18]
	v_mul_f64 v[17:18], v[100:101], v[6:7]
	s_delay_alu instid0(VALU_DEP_1)
	v_fma_f64 v[186:187], v[102:103], v[4:5], v[17:18]
	ds_load_b128 v[100:103], v255 offset:11424
	ds_load_b128 v[124:127], v255 offset:13328
	s_waitcnt vmcnt(0)
	scratch_store_b128 off, v[0:3], off offset:300 ; 16-byte Folded Spill
	v_mul_f64 v[4:5], v[238:239], s[34:35]
	s_waitcnt lgkmcnt(1)
	v_mul_f64 v[17:18], v[102:103], v[2:3]
	s_delay_alu instid0(VALU_DEP_1) | instskip(SKIP_1) | instid1(VALU_DEP_1)
	v_fma_f64 v[188:189], v[100:101], v[0:1], -v[17:18]
	v_mul_f64 v[17:18], v[100:101], v[2:3]
	v_fma_f64 v[190:191], v[102:103], v[0:1], v[17:18]
	s_clause 0x1
	global_load_b128 v[100:103], v[104:105], off offset:1728
	global_load_b128 v[104:107], v[104:105], off offset:1744
	s_waitcnt vmcnt(1) lgkmcnt(0)
	v_mul_f64 v[17:18], v[126:127], v[102:103]
	s_delay_alu instid0(VALU_DEP_1) | instskip(SKIP_1) | instid1(VALU_DEP_2)
	v_fma_f64 v[192:193], v[124:125], v[100:101], -v[17:18]
	v_mul_f64 v[17:18], v[124:125], v[102:103]
	v_add_f64 v[29:30], v[188:189], v[192:193]
	s_delay_alu instid0(VALU_DEP_2) | instskip(SKIP_2) | instid1(VALU_DEP_2)
	v_fma_f64 v[194:195], v[126:127], v[100:101], v[17:18]
	s_waitcnt vmcnt(0)
	v_mul_f64 v[17:18], v[122:123], v[106:107]
	v_add_f64 v[27:28], v[190:191], -v[194:195]
	s_delay_alu instid0(VALU_DEP_2) | instskip(SKIP_1) | instid1(VALU_DEP_3)
	v_fma_f64 v[196:197], v[120:121], v[104:105], -v[17:18]
	v_mul_f64 v[17:18], v[120:121], v[106:107]
	v_mul_f64 v[31:32], v[27:28], s[34:35]
	s_delay_alu instid0(VALU_DEP_3) | instskip(NEXT) | instid1(VALU_DEP_3)
	v_add_f64 v[250:251], v[184:185], v[196:197]
	v_fma_f64 v[198:199], v[122:123], v[104:105], v[17:18]
	v_add_f64 v[17:18], v[130:131], -v[12:13]
	v_add_f64 v[19:20], v[184:185], -v[196:197]
	v_mul_f64 v[55:56], v[27:28], s[26:27]
	v_mul_f64 v[95:96], v[27:28], s[22:23]
	v_fma_f64 v[33:34], v[29:30], s[2:3], v[31:32]
	v_add_f64 v[248:249], v[186:187], -v[198:199]
	v_mul_f64 v[132:133], v[17:18], s[26:27]
	v_mul_f64 v[120:121], v[17:18], s[24:25]
	;; [unrolled: 1-line block ×6, first 2 shown]
	v_add_f64 v[21:22], v[186:187], v[198:199]
	v_mul_f64 v[23:24], v[19:20], s[26:27]
	v_fma_f64 v[57:58], v[29:30], s[8:9], -v[55:56]
	v_fma_f64 v[97:98], v[29:30], s[10:11], -v[95:96]
	v_mul_f64 v[252:253], v[248:249], s[26:27]
	v_fma_f64 v[152:153], v[134:135], s[8:9], -v[132:133]
	v_fma_f64 v[154:155], v[134:135], s[8:9], v[132:133]
	v_add_f64 v[132:133], v[128:129], -v[14:15]
	v_fma_f64 v[136:137], v[134:135], s[20:21], -v[120:121]
	v_fma_f64 v[120:121], v[134:135], s[20:21], v[120:121]
	v_fma_f64 v[138:139], v[134:135], s[16:17], -v[122:123]
	v_fma_f64 v[122:123], v[134:135], s[16:17], v[122:123]
	;; [unrolled: 2-line block ×5, first 2 shown]
	v_fma_f64 v[25:26], v[21:22], s[8:9], -v[23:24]
	v_mul_f64 v[35:36], v[248:249], s[36:37]
	v_mul_f64 v[51:52], v[248:249], s[28:29]
	v_add_f64 v[154:155], v[116:117], v[154:155]
	v_mul_f64 v[134:135], v[132:133], s[24:25]
	v_mul_f64 v[144:145], v[132:133], s[28:29]
	;; [unrolled: 1-line block ×6, first 2 shown]
	v_add_f64 v[230:231], v[116:117], v[138:139]
	v_add_f64 v[120:121], v[116:117], v[120:121]
	;; [unrolled: 1-line block ×7, first 2 shown]
	v_fma_f64 v[37:38], v[250:251], s[18:19], -v[35:36]
	s_mov_b32 s25, 0x3fddbe06
	v_fma_f64 v[53:54], v[250:251], s[16:17], -v[51:52]
	v_mul_f64 v[39:40], v[27:28], s[24:25]
	v_mul_f64 v[47:48], v[240:241], s[24:25]
	;; [unrolled: 1-line block ×4, first 2 shown]
	v_fma_f64 v[158:159], v[156:157], s[20:21], v[134:135]
	v_fma_f64 v[134:135], v[156:157], s[20:21], -v[134:135]
	v_fma_f64 v[160:161], v[156:157], s[16:17], v[144:145]
	v_fma_f64 v[144:145], v[156:157], s[16:17], -v[144:145]
	v_fma_f64 v[162:163], v[156:157], s[18:19], v[146:147]
	v_fma_f64 v[216:217], v[156:157], s[2:3], v[132:133]
	v_fma_f64 v[206:207], v[156:157], s[18:19], -v[146:147]
	v_fma_f64 v[208:209], v[156:157], s[10:11], v[148:149]
	v_fma_f64 v[210:211], v[156:157], s[10:11], -v[148:149]
	;; [unrolled: 2-line block ×3, first 2 shown]
	v_fma_f64 v[218:219], v[156:157], s[2:3], -v[132:133]
	v_add_f64 v[156:157], v[116:117], v[136:137]
	v_add_f64 v[146:147], v[116:117], v[122:123]
	;; [unrolled: 1-line block ×3, first 2 shown]
	v_fma_f64 v[41:42], v[29:30], s[20:21], -v[39:40]
	v_fma_f64 v[49:50], v[222:223], s[20:21], -v[47:48]
	;; [unrolled: 1-line block ×3, first 2 shown]
	v_add_f64 v[158:159], v[118:119], v[158:159]
	v_add_f64 v[220:221], v[118:119], v[134:135]
	;; [unrolled: 1-line block ×6, first 2 shown]
	v_add_f64 v[216:217], v[166:167], -v[112:113]
	v_add_f64 v[148:149], v[118:119], v[206:207]
	v_add_f64 v[128:129], v[118:119], v[208:209]
	;; [unrolled: 1-line block ×4, first 2 shown]
	v_mul_f64 v[210:211], v[226:227], s[28:29]
	v_add_f64 v[162:163], v[116:117], v[126:127]
	v_add_f64 v[132:133], v[118:119], v[212:213]
	;; [unrolled: 1-line block ×4, first 2 shown]
	v_mul_f64 v[214:215], v[228:229], s[30:31]
	v_add_f64 v[144:145], v[118:119], v[144:145]
	v_add_f64 v[140:141], v[118:119], v[218:219]
	;; [unrolled: 1-line block ×3, first 2 shown]
	v_mul_f64 v[206:207], v[216:217], s[28:29]
	v_fma_f64 v[61:62], v[208:209], s[8:9], v[59:60]
	v_fma_f64 v[116:117], v[208:209], s[16:17], -v[210:211]
	v_fma_f64 v[81:82], v[208:209], s[18:19], v[79:80]
	v_fma_f64 v[65:66], v[212:213], s[20:21], -v[63:64]
	;; [unrolled: 2-line block ×3, first 2 shown]
	v_fma_f64 v[6:7], v[218:219], s[2:3], v[4:5]
	v_fma_f64 v[45:46], v[218:219], s[10:11], v[43:44]
	v_fma_f64 v[4:5], v[218:219], s[2:3], -v[4:5]
	v_fma_f64 v[17:18], v[204:205], s[16:17], v[206:207]
	v_add_f64 v[61:62], v[61:62], v[128:129]
	v_add_f64 v[116:117], v[116:117], v[220:221]
	v_mul_f64 v[220:221], v[238:239], s[30:31]
	v_add_f64 v[81:82], v[81:82], v[132:133]
	v_add_f64 v[17:18], v[17:18], v[120:121]
	s_delay_alu instid0(VALU_DEP_1) | instskip(NEXT) | instid1(VALU_DEP_4)
	v_add_f64 v[17:18], v[118:119], v[17:18]
	v_fma_f64 v[118:119], v[218:219], s[18:19], -v[220:221]
	s_delay_alu instid0(VALU_DEP_1) | instskip(SKIP_1) | instid1(VALU_DEP_1)
	v_add_f64 v[116:117], v[118:119], v[116:117]
	v_fma_f64 v[118:119], v[222:223], s[10:11], v[224:225]
	v_add_f64 v[17:18], v[118:119], v[17:18]
	v_fma_f64 v[118:119], v[244:245], s[10:11], -v[246:247]
	s_delay_alu instid0(VALU_DEP_1) | instskip(SKIP_1) | instid1(VALU_DEP_2)
	v_add_f64 v[116:117], v[118:119], v[116:117]
	v_fma_f64 v[118:119], v[250:251], s[8:9], v[252:253]
	v_add_f64 v[25:26], v[25:26], v[116:117]
	s_delay_alu instid0(VALU_DEP_2) | instskip(NEXT) | instid1(VALU_DEP_1)
	v_add_f64 v[17:18], v[118:119], v[17:18]
	v_add_f64 v[116:117], v[33:34], v[17:18]
	v_add_f64 v[17:18], v[188:189], -v[192:193]
	v_add_f64 v[33:34], v[190:191], v[194:195]
	s_delay_alu instid0(VALU_DEP_2) | instskip(NEXT) | instid1(VALU_DEP_1)
	v_mul_f64 v[0:1], v[17:18], s[34:35]
	v_fma_f64 v[2:3], v[33:34], s[2:3], -v[0:1]
	v_fma_f64 v[0:1], v[33:34], s[2:3], v[0:1]
	s_delay_alu instid0(VALU_DEP_2) | instskip(SKIP_1) | instid1(VALU_DEP_1)
	v_add_f64 v[118:119], v[2:3], v[25:26]
	v_mul_f64 v[2:3], v[216:217], s[22:23]
	v_fma_f64 v[25:26], v[204:205], s[10:11], -v[2:3]
	v_fma_f64 v[2:3], v[204:205], s[10:11], v[2:3]
	s_delay_alu instid0(VALU_DEP_2) | instskip(SKIP_1) | instid1(VALU_DEP_3)
	v_add_f64 v[25:26], v[25:26], v[230:231]
	v_mul_f64 v[230:231], v[226:227], s[22:23]
	v_add_f64 v[2:3], v[2:3], v[146:147]
	s_delay_alu instid0(VALU_DEP_2) | instskip(NEXT) | instid1(VALU_DEP_1)
	v_fma_f64 v[120:121], v[208:209], s[10:11], v[230:231]
	v_add_f64 v[120:121], v[120:121], v[232:233]
	v_mul_f64 v[232:233], v[228:229], s[34:35]
	s_delay_alu instid0(VALU_DEP_2) | instskip(NEXT) | instid1(VALU_DEP_2)
	v_add_f64 v[6:7], v[6:7], v[120:121]
	v_fma_f64 v[122:123], v[212:213], s[2:3], -v[232:233]
	s_delay_alu instid0(VALU_DEP_1) | instskip(NEXT) | instid1(VALU_DEP_1)
	v_add_f64 v[25:26], v[122:123], v[25:26]
	v_add_f64 v[10:11], v[10:11], v[25:26]
	v_mul_f64 v[25:26], v[242:243], s[38:39]
	s_delay_alu instid0(VALU_DEP_2) | instskip(NEXT) | instid1(VALU_DEP_2)
	v_add_f64 v[10:11], v[37:38], v[10:11]
	v_fma_f64 v[120:121], v[244:245], s[8:9], v[25:26]
	v_mul_f64 v[37:38], v[19:20], s[36:37]
	s_delay_alu instid0(VALU_DEP_2) | instskip(NEXT) | instid1(VALU_DEP_2)
	v_add_f64 v[6:7], v[120:121], v[6:7]
	v_fma_f64 v[120:121], v[21:22], s[18:19], v[37:38]
	s_delay_alu instid0(VALU_DEP_1) | instskip(SKIP_2) | instid1(VALU_DEP_1)
	v_add_f64 v[6:7], v[120:121], v[6:7]
	v_add_f64 v[120:121], v[41:42], v[10:11]
	v_mul_f64 v[10:11], v[17:18], s[24:25]
	v_fma_f64 v[41:42], v[33:34], s[20:21], v[10:11]
	s_delay_alu instid0(VALU_DEP_1) | instskip(SKIP_1) | instid1(VALU_DEP_1)
	v_add_f64 v[122:123], v[41:42], v[6:7]
	v_mul_f64 v[6:7], v[216:217], s[34:35]
	v_fma_f64 v[41:42], v[204:205], s[2:3], -v[6:7]
	v_fma_f64 v[6:7], v[204:205], s[2:3], v[6:7]
	s_delay_alu instid0(VALU_DEP_2) | instskip(SKIP_2) | instid1(VALU_DEP_3)
	v_add_f64 v[41:42], v[41:42], v[234:235]
	v_mul_f64 v[234:235], v[226:227], s[34:35]
	s_mov_b32 s35, 0x3fcea1e5
	v_add_f64 v[6:7], v[6:7], v[150:151]
	v_mul_f64 v[71:72], v[248:249], s[34:35]
	v_mul_f64 v[87:88], v[240:241], s[34:35]
	s_delay_alu instid0(VALU_DEP_4) | instskip(NEXT) | instid1(VALU_DEP_3)
	v_fma_f64 v[124:125], v[208:209], s[2:3], v[234:235]
	v_fma_f64 v[73:74], v[250:251], s[2:3], -v[71:72]
	s_delay_alu instid0(VALU_DEP_3) | instskip(NEXT) | instid1(VALU_DEP_3)
	v_fma_f64 v[89:90], v[222:223], s[2:3], -v[87:88]
	v_add_f64 v[124:125], v[124:125], v[236:237]
	v_mul_f64 v[236:237], v[228:229], s[40:41]
	s_delay_alu instid0(VALU_DEP_2) | instskip(NEXT) | instid1(VALU_DEP_2)
	v_add_f64 v[45:46], v[45:46], v[124:125]
	v_fma_f64 v[126:127], v[212:213], s[10:11], -v[236:237]
	s_delay_alu instid0(VALU_DEP_1) | instskip(NEXT) | instid1(VALU_DEP_1)
	v_add_f64 v[41:42], v[126:127], v[41:42]
	v_add_f64 v[41:42], v[49:50], v[41:42]
	v_mul_f64 v[49:50], v[242:243], s[24:25]
	s_delay_alu instid0(VALU_DEP_2) | instskip(NEXT) | instid1(VALU_DEP_2)
	v_add_f64 v[41:42], v[53:54], v[41:42]
	v_fma_f64 v[124:125], v[244:245], s[20:21], v[49:50]
	v_mul_f64 v[53:54], v[19:20], s[28:29]
	s_delay_alu instid0(VALU_DEP_2) | instskip(NEXT) | instid1(VALU_DEP_2)
	v_add_f64 v[45:46], v[124:125], v[45:46]
	v_fma_f64 v[124:125], v[21:22], s[16:17], v[53:54]
	s_delay_alu instid0(VALU_DEP_1) | instskip(SKIP_2) | instid1(VALU_DEP_1)
	v_add_f64 v[45:46], v[124:125], v[45:46]
	v_add_f64 v[124:125], v[57:58], v[41:42]
	v_mul_f64 v[41:42], v[17:18], s[26:27]
	v_fma_f64 v[57:58], v[33:34], s[8:9], v[41:42]
	s_delay_alu instid0(VALU_DEP_1) | instskip(SKIP_1) | instid1(VALU_DEP_1)
	v_add_f64 v[126:127], v[57:58], v[45:46]
	v_mul_f64 v[45:46], v[216:217], s[38:39]
	v_fma_f64 v[57:58], v[204:205], s[8:9], -v[45:46]
	s_delay_alu instid0(VALU_DEP_1) | instskip(NEXT) | instid1(VALU_DEP_1)
	v_add_f64 v[57:58], v[57:58], v[130:131]
	v_add_f64 v[57:58], v[65:66], v[57:58]
	v_mul_f64 v[65:66], v[238:239], s[24:25]
	s_delay_alu instid0(VALU_DEP_2) | instskip(NEXT) | instid1(VALU_DEP_2)
	v_add_f64 v[57:58], v[69:70], v[57:58]
	v_fma_f64 v[128:129], v[218:219], s[20:21], v[65:66]
	v_mul_f64 v[69:70], v[242:243], s[30:31]
	s_mov_b32 s31, 0x3fea55e2
	s_mov_b32 s30, s28
	s_delay_alu instid0(SALU_CYCLE_1)
	v_mul_f64 v[75:76], v[27:28], s[30:31]
	v_mul_f64 v[27:28], v[27:28], s[36:37]
	v_add_f64 v[57:58], v[73:74], v[57:58]
	v_add_f64 v[61:62], v[128:129], v[61:62]
	v_fma_f64 v[128:129], v[244:245], s[18:19], v[69:70]
	v_mul_f64 v[73:74], v[19:20], s[34:35]
	v_fma_f64 v[77:78], v[29:30], s[16:17], -v[75:76]
	s_delay_alu instid0(VALU_DEP_3) | instskip(NEXT) | instid1(VALU_DEP_3)
	v_add_f64 v[61:62], v[128:129], v[61:62]
	v_fma_f64 v[128:129], v[21:22], s[2:3], v[73:74]
	s_delay_alu instid0(VALU_DEP_1) | instskip(NEXT) | instid1(VALU_DEP_4)
	v_add_f64 v[61:62], v[128:129], v[61:62]
	v_add_f64 v[128:129], v[77:78], v[57:58]
	v_mul_f64 v[57:58], v[17:18], s[30:31]
	s_delay_alu instid0(VALU_DEP_1) | instskip(NEXT) | instid1(VALU_DEP_1)
	v_fma_f64 v[77:78], v[33:34], s[16:17], v[57:58]
	v_add_f64 v[130:131], v[77:78], v[61:62]
	v_mul_f64 v[61:62], v[216:217], s[36:37]
	s_delay_alu instid0(VALU_DEP_1) | instskip(NEXT) | instid1(VALU_DEP_1)
	v_fma_f64 v[77:78], v[204:205], s[18:19], -v[61:62]
	v_add_f64 v[77:78], v[77:78], v[134:135]
	s_delay_alu instid0(VALU_DEP_1) | instskip(SKIP_1) | instid1(VALU_DEP_2)
	v_add_f64 v[77:78], v[85:86], v[77:78]
	v_mul_f64 v[85:86], v[238:239], s[28:29]
	v_add_f64 v[77:78], v[89:90], v[77:78]
	s_delay_alu instid0(VALU_DEP_2) | instskip(SKIP_1) | instid1(VALU_DEP_3)
	v_fma_f64 v[132:133], v[218:219], s[16:17], v[85:86]
	v_mul_f64 v[89:90], v[242:243], s[34:35]
	v_add_f64 v[77:78], v[93:94], v[77:78]
	s_delay_alu instid0(VALU_DEP_3) | instskip(NEXT) | instid1(VALU_DEP_3)
	v_add_f64 v[81:82], v[132:133], v[81:82]
	v_fma_f64 v[132:133], v[244:245], s[2:3], v[89:90]
	v_mul_f64 v[93:94], v[19:20], s[24:25]
	v_mul_f64 v[19:20], v[19:20], s[22:23]
	s_delay_alu instid0(VALU_DEP_3) | instskip(NEXT) | instid1(VALU_DEP_3)
	v_add_f64 v[81:82], v[132:133], v[81:82]
	v_fma_f64 v[132:133], v[21:22], s[20:21], v[93:94]
	s_delay_alu instid0(VALU_DEP_1) | instskip(SKIP_3) | instid1(VALU_DEP_2)
	v_add_f64 v[81:82], v[132:133], v[81:82]
	v_add_f64 v[132:133], v[97:98], v[77:78]
	v_mul_f64 v[77:78], v[17:18], s[22:23]
	v_mul_f64 v[17:18], v[17:18], s[36:37]
	v_fma_f64 v[97:98], v[33:34], s[10:11], v[77:78]
	s_delay_alu instid0(VALU_DEP_1)
	v_add_f64 v[134:135], v[97:98], v[81:82]
	v_mul_f64 v[81:82], v[216:217], s[24:25]
	v_mul_f64 v[216:217], v[226:227], s[24:25]
	;; [unrolled: 1-line block ×7, first 2 shown]
	v_fma_f64 v[97:98], v[204:205], s[20:21], -v[81:82]
	v_fma_f64 v[81:82], v[204:205], s[20:21], v[81:82]
	s_delay_alu instid0(VALU_DEP_2) | instskip(SKIP_1) | instid1(VALU_DEP_3)
	v_add_f64 v[97:98], v[97:98], v[138:139]
	v_fma_f64 v[138:139], v[208:209], s[20:21], v[216:217]
	v_add_f64 v[81:82], v[81:82], v[142:143]
	s_delay_alu instid0(VALU_DEP_2) | instskip(SKIP_1) | instid1(VALU_DEP_1)
	v_add_f64 v[136:137], v[138:139], v[136:137]
	v_fma_f64 v[138:139], v[212:213], s[8:9], -v[226:227]
	v_add_f64 v[97:98], v[138:139], v[97:98]
	v_fma_f64 v[138:139], v[218:219], s[8:9], v[228:229]
	s_delay_alu instid0(VALU_DEP_1) | instskip(SKIP_1) | instid1(VALU_DEP_1)
	v_add_f64 v[136:137], v[138:139], v[136:137]
	v_fma_f64 v[138:139], v[222:223], s[16:17], -v[238:239]
	v_add_f64 v[97:98], v[138:139], v[97:98]
	v_fma_f64 v[138:139], v[244:245], s[16:17], v[240:241]
	s_delay_alu instid0(VALU_DEP_1) | instskip(SKIP_1) | instid1(VALU_DEP_1)
	v_add_f64 v[136:137], v[138:139], v[136:137]
	v_fma_f64 v[138:139], v[250:251], s[10:11], -v[242:243]
	v_add_f64 v[97:98], v[138:139], v[97:98]
	v_fma_f64 v[138:139], v[21:22], s[10:11], v[19:20]
	v_fma_f64 v[19:20], v[21:22], s[10:11], -v[19:20]
	s_delay_alu instid0(VALU_DEP_2) | instskip(SKIP_2) | instid1(VALU_DEP_2)
	v_add_f64 v[138:139], v[138:139], v[136:137]
	v_fma_f64 v[136:137], v[29:30], s[18:19], -v[27:28]
	v_fma_f64 v[27:28], v[29:30], s[18:19], v[27:28]
	v_add_f64 v[136:137], v[136:137], v[97:98]
	v_fma_f64 v[97:98], v[33:34], s[18:19], v[17:18]
	v_fma_f64 v[17:18], v[33:34], s[18:19], -v[17:18]
	s_delay_alu instid0(VALU_DEP_2) | instskip(SKIP_1) | instid1(VALU_DEP_1)
	v_add_f64 v[138:139], v[97:98], v[138:139]
	v_fma_f64 v[97:98], v[208:209], s[20:21], -v[216:217]
	v_add_f64 v[97:98], v[97:98], v[140:141]
	v_fma_f64 v[140:141], v[212:213], s[8:9], v[226:227]
	s_delay_alu instid0(VALU_DEP_1) | instskip(SKIP_1) | instid1(VALU_DEP_1)
	v_add_f64 v[81:82], v[140:141], v[81:82]
	v_fma_f64 v[140:141], v[218:219], s[8:9], -v[228:229]
	v_add_f64 v[97:98], v[140:141], v[97:98]
	v_fma_f64 v[140:141], v[222:223], s[16:17], v[238:239]
	s_delay_alu instid0(VALU_DEP_1) | instskip(SKIP_1) | instid1(VALU_DEP_1)
	v_add_f64 v[81:82], v[140:141], v[81:82]
	v_fma_f64 v[140:141], v[244:245], s[16:17], -v[240:241]
	v_add_f64 v[97:98], v[140:141], v[97:98]
	v_fma_f64 v[140:141], v[250:251], s[10:11], v[242:243]
	s_delay_alu instid0(VALU_DEP_2) | instskip(NEXT) | instid1(VALU_DEP_2)
	v_add_f64 v[19:20], v[19:20], v[97:98]
	v_add_f64 v[81:82], v[140:141], v[81:82]
	s_delay_alu instid0(VALU_DEP_2) | instskip(SKIP_1) | instid1(VALU_DEP_3)
	v_add_f64 v[142:143], v[17:18], v[19:20]
	v_fma_f64 v[17:18], v[204:205], s[18:19], v[61:62]
	v_add_f64 v[140:141], v[27:28], v[81:82]
	v_fma_f64 v[19:20], v[208:209], s[18:19], -v[79:80]
	v_fma_f64 v[27:28], v[212:213], s[16:17], v[83:84]
	v_fma_f64 v[61:62], v[33:34], s[10:11], -v[77:78]
	v_add_f64 v[17:18], v[17:18], v[154:155]
	s_delay_alu instid0(VALU_DEP_4) | instskip(NEXT) | instid1(VALU_DEP_2)
	v_add_f64 v[19:20], v[19:20], v[152:153]
	v_add_f64 v[17:18], v[27:28], v[17:18]
	v_fma_f64 v[27:28], v[218:219], s[16:17], -v[85:86]
	s_delay_alu instid0(VALU_DEP_1) | instskip(SKIP_1) | instid1(VALU_DEP_1)
	v_add_f64 v[19:20], v[27:28], v[19:20]
	v_fma_f64 v[27:28], v[222:223], s[2:3], v[87:88]
	v_add_f64 v[17:18], v[27:28], v[17:18]
	v_fma_f64 v[27:28], v[244:245], s[2:3], -v[89:90]
	s_delay_alu instid0(VALU_DEP_1) | instskip(SKIP_1) | instid1(VALU_DEP_1)
	v_add_f64 v[19:20], v[27:28], v[19:20]
	v_fma_f64 v[27:28], v[250:251], s[20:21], v[91:92]
	v_add_f64 v[17:18], v[27:28], v[17:18]
	v_fma_f64 v[27:28], v[21:22], s[20:21], -v[93:94]
	s_delay_alu instid0(VALU_DEP_1) | instskip(SKIP_1) | instid1(VALU_DEP_2)
	v_add_f64 v[19:20], v[27:28], v[19:20]
	v_fma_f64 v[27:28], v[29:30], s[10:11], v[95:96]
	v_add_f64 v[154:155], v[61:62], v[19:20]
	s_delay_alu instid0(VALU_DEP_2) | instskip(SKIP_4) | instid1(VALU_DEP_4)
	v_add_f64 v[152:153], v[27:28], v[17:18]
	v_fma_f64 v[17:18], v[204:205], s[8:9], v[45:46]
	v_fma_f64 v[19:20], v[208:209], s[8:9], -v[59:60]
	v_fma_f64 v[27:28], v[212:213], s[20:21], v[63:64]
	v_fma_f64 v[45:46], v[33:34], s[16:17], -v[57:58]
	v_add_f64 v[17:18], v[17:18], v[162:163]
	s_delay_alu instid0(VALU_DEP_4) | instskip(NEXT) | instid1(VALU_DEP_2)
	v_add_f64 v[19:20], v[19:20], v[160:161]
	v_add_f64 v[17:18], v[27:28], v[17:18]
	v_fma_f64 v[27:28], v[218:219], s[20:21], -v[65:66]
	s_delay_alu instid0(VALU_DEP_1) | instskip(SKIP_1) | instid1(VALU_DEP_1)
	v_add_f64 v[19:20], v[27:28], v[19:20]
	v_fma_f64 v[27:28], v[222:223], s[18:19], v[67:68]
	v_add_f64 v[17:18], v[27:28], v[17:18]
	v_fma_f64 v[27:28], v[244:245], s[18:19], -v[69:70]
	s_delay_alu instid0(VALU_DEP_1) | instskip(SKIP_1) | instid1(VALU_DEP_1)
	v_add_f64 v[19:20], v[27:28], v[19:20]
	v_fma_f64 v[27:28], v[250:251], s[2:3], v[71:72]
	v_add_f64 v[17:18], v[27:28], v[17:18]
	v_fma_f64 v[27:28], v[21:22], s[2:3], -v[73:74]
	s_delay_alu instid0(VALU_DEP_1) | instskip(SKIP_1) | instid1(VALU_DEP_2)
	v_add_f64 v[19:20], v[27:28], v[19:20]
	v_fma_f64 v[27:28], v[29:30], s[16:17], v[75:76]
	v_add_f64 v[162:163], v[45:46], v[19:20]
	s_delay_alu instid0(VALU_DEP_2) | instskip(SKIP_3) | instid1(VALU_DEP_3)
	v_add_f64 v[160:161], v[27:28], v[17:18]
	v_fma_f64 v[17:18], v[208:209], s[2:3], -v[234:235]
	v_fma_f64 v[19:20], v[212:213], s[10:11], v[236:237]
	v_fma_f64 v[27:28], v[33:34], s[8:9], -v[41:42]
	v_add_f64 v[17:18], v[17:18], v[148:149]
	s_delay_alu instid0(VALU_DEP_3) | instskip(SKIP_1) | instid1(VALU_DEP_1)
	v_add_f64 v[6:7], v[19:20], v[6:7]
	v_fma_f64 v[19:20], v[218:219], s[10:11], -v[43:44]
	v_add_f64 v[17:18], v[19:20], v[17:18]
	v_fma_f64 v[19:20], v[222:223], s[20:21], v[47:48]
	s_delay_alu instid0(VALU_DEP_1) | instskip(SKIP_1) | instid1(VALU_DEP_1)
	v_add_f64 v[6:7], v[19:20], v[6:7]
	v_fma_f64 v[19:20], v[244:245], s[20:21], -v[49:50]
	v_add_f64 v[17:18], v[19:20], v[17:18]
	v_fma_f64 v[19:20], v[250:251], s[16:17], v[51:52]
	s_delay_alu instid0(VALU_DEP_1) | instskip(SKIP_1) | instid1(VALU_DEP_1)
	v_add_f64 v[6:7], v[19:20], v[6:7]
	v_fma_f64 v[19:20], v[21:22], s[16:17], -v[53:54]
	v_add_f64 v[17:18], v[19:20], v[17:18]
	v_fma_f64 v[19:20], v[29:30], s[8:9], v[55:56]
	s_delay_alu instid0(VALU_DEP_2) | instskip(NEXT) | instid1(VALU_DEP_2)
	v_add_f64 v[150:151], v[27:28], v[17:18]
	v_add_f64 v[148:149], v[19:20], v[6:7]
	v_fma_f64 v[6:7], v[208:209], s[10:11], -v[230:231]
	v_fma_f64 v[17:18], v[212:213], s[2:3], v[232:233]
	s_delay_alu instid0(VALU_DEP_2) | instskip(NEXT) | instid1(VALU_DEP_2)
	v_add_f64 v[6:7], v[6:7], v[144:145]
	v_add_f64 v[2:3], v[17:18], v[2:3]
	v_fma_f64 v[17:18], v[244:245], s[10:11], v[246:247]
	s_delay_alu instid0(VALU_DEP_3) | instskip(SKIP_3) | instid1(VALU_DEP_3)
	v_add_f64 v[4:5], v[4:5], v[6:7]
	v_fma_f64 v[6:7], v[222:223], s[8:9], v[8:9]
	v_fma_f64 v[8:9], v[33:34], s[20:21], -v[10:11]
	v_fma_f64 v[10:11], v[222:223], s[10:11], -v[224:225]
	v_add_f64 v[2:3], v[6:7], v[2:3]
	v_fma_f64 v[6:7], v[244:245], s[8:9], -v[25:26]
	s_delay_alu instid0(VALU_DEP_1) | instskip(SKIP_1) | instid1(VALU_DEP_1)
	v_add_f64 v[4:5], v[6:7], v[4:5]
	v_fma_f64 v[6:7], v[250:251], s[18:19], v[35:36]
	v_add_f64 v[2:3], v[6:7], v[2:3]
	v_fma_f64 v[6:7], v[21:22], s[18:19], -v[37:38]
	s_delay_alu instid0(VALU_DEP_1) | instskip(SKIP_1) | instid1(VALU_DEP_2)
	v_add_f64 v[4:5], v[6:7], v[4:5]
	v_fma_f64 v[6:7], v[29:30], s[20:21], v[39:40]
	v_add_f64 v[146:147], v[8:9], v[4:5]
	s_delay_alu instid0(VALU_DEP_2) | instskip(SKIP_4) | instid1(VALU_DEP_4)
	v_add_f64 v[144:145], v[6:7], v[2:3]
	v_fma_f64 v[2:3], v[204:205], s[16:17], -v[206:207]
	v_fma_f64 v[4:5], v[208:209], s[16:17], v[210:211]
	v_fma_f64 v[6:7], v[212:213], s[18:19], -v[214:215]
	v_fma_f64 v[8:9], v[218:219], s[18:19], v[220:221]
	v_add_f64 v[2:3], v[2:3], v[156:157]
	s_delay_alu instid0(VALU_DEP_4) | instskip(NEXT) | instid1(VALU_DEP_2)
	v_add_f64 v[4:5], v[4:5], v[158:159]
	v_add_f64 v[2:3], v[6:7], v[2:3]
	s_delay_alu instid0(VALU_DEP_2) | instskip(SKIP_2) | instid1(VALU_DEP_4)
	v_add_f64 v[4:5], v[8:9], v[4:5]
	v_fma_f64 v[6:7], v[250:251], s[8:9], -v[252:253]
	v_fma_f64 v[8:9], v[21:22], s[8:9], v[23:24]
	v_add_f64 v[2:3], v[10:11], v[2:3]
	s_delay_alu instid0(VALU_DEP_4) | instskip(SKIP_1) | instid1(VALU_DEP_3)
	v_add_f64 v[4:5], v[17:18], v[4:5]
	v_fma_f64 v[10:11], v[29:30], s[2:3], -v[31:32]
	v_add_f64 v[2:3], v[6:7], v[2:3]
	s_delay_alu instid0(VALU_DEP_3) | instskip(NEXT) | instid1(VALU_DEP_2)
	v_add_f64 v[4:5], v[8:9], v[4:5]
	v_add_f64 v[156:157], v[10:11], v[2:3]
	s_delay_alu instid0(VALU_DEP_2) | instskip(SKIP_2) | instid1(VALU_DEP_2)
	v_add_f64 v[158:159], v[0:1], v[4:5]
	v_add_f64 v[0:1], v[200:201], v[164:165]
	;; [unrolled: 1-line block ×4, first 2 shown]
	s_delay_alu instid0(VALU_DEP_2) | instskip(NEXT) | instid1(VALU_DEP_2)
	v_add_f64 v[2:3], v[2:3], v[174:175]
	v_add_f64 v[0:1], v[0:1], v[182:183]
	s_delay_alu instid0(VALU_DEP_2) | instskip(NEXT) | instid1(VALU_DEP_2)
	v_add_f64 v[2:3], v[2:3], v[180:181]
	v_add_f64 v[0:1], v[0:1], v[184:185]
	;; [unrolled: 3-line block ×9, first 2 shown]
	s_delay_alu instid0(VALU_DEP_2)
	v_add_f64 v[114:115], v[2:3], v[12:13]
	ds_store_b128 v255, v[120:123] offset:3808
	ds_store_b128 v255, v[124:127] offset:5712
	ds_store_b128 v255, v[128:131] offset:7616
	ds_store_b128 v255, v[132:135] offset:9520
	ds_store_b128 v255, v[136:139] offset:11424
	ds_store_b128 v255, v[140:143] offset:13328
	ds_store_b128 v255, v[152:155] offset:15232
	ds_store_b128 v255, v[160:163] offset:17136
	ds_store_b128 v255, v[148:151] offset:19040
	ds_store_b128 v255, v[144:147] offset:20944
	ds_store_b128 v255, v[116:119] offset:22848
	ds_store_b128 v255, v[156:159] offset:1904
	ds_store_b128 v255, v[112:115]
	s_waitcnt lgkmcnt(0)
	s_waitcnt_vscnt null, 0x0
	s_barrier
	buffer_gl0_inv
	s_and_saveexec_b32 s2, vcc_lo
	s_cbranch_execz .LBB0_13
; %bb.12:
	v_add_co_u32 v12, s1, s12, v255
	s_delay_alu instid0(VALU_DEP_1) | instskip(NEXT) | instid1(VALU_DEP_2)
	v_add_co_ci_u32_e64 v13, null, s13, 0, s1
	v_add_co_u32 v0, s1, 0x6000, v12
	s_delay_alu instid0(VALU_DEP_1) | instskip(SKIP_2) | instid1(VALU_DEP_1)
	v_add_co_ci_u32_e64 v1, s1, 0, v13, s1
	global_load_b128 v[176:179], v[0:1], off offset:176
	v_add_co_u32 v0, s1, 0x60b0, v12
	v_add_co_ci_u32_e64 v1, s1, 0, v13, s1
	s_clause 0x1
	global_load_b128 v[172:175], v[0:1], off offset:1456
	global_load_b128 v[168:171], v[0:1], off offset:2912
	v_add_co_u32 v0, s1, 0x7000, v12
	s_delay_alu instid0(VALU_DEP_1)
	v_add_co_ci_u32_e64 v1, s1, 0, v13, s1
	s_clause 0x2
	global_load_b128 v[164:167], v[0:1], off offset:448
	global_load_b128 v[180:183], v[0:1], off offset:1904
	;; [unrolled: 1-line block ×3, first 2 shown]
	ds_load_b128 v[188:191], v255
	ds_load_b128 v[192:195], v255 offset:1456
	ds_load_b128 v[196:199], v255 offset:4368
	s_waitcnt vmcnt(5) lgkmcnt(2)
	v_mul_f64 v[0:1], v[190:191], v[178:179]
	v_mul_f64 v[2:3], v[188:189], v[178:179]
	s_waitcnt vmcnt(4) lgkmcnt(1)
	v_mul_f64 v[4:5], v[194:195], v[174:175]
	s_delay_alu instid0(VALU_DEP_3) | instskip(SKIP_1) | instid1(VALU_DEP_4)
	v_fma_f64 v[188:189], v[188:189], v[176:177], -v[0:1]
	v_mul_f64 v[0:1], v[192:193], v[174:175]
	v_fma_f64 v[190:191], v[190:191], v[176:177], v[2:3]
	ds_load_b128 v[174:177], v255 offset:2912
	v_fma_f64 v[192:193], v[192:193], v[172:173], -v[4:5]
	s_waitcnt vmcnt(2) lgkmcnt(1)
	v_mul_f64 v[4:5], v[198:199], v[166:167]
	s_waitcnt lgkmcnt(0)
	v_mul_f64 v[2:3], v[174:175], v[170:171]
	v_fma_f64 v[194:195], v[194:195], v[172:173], v[0:1]
	v_mul_f64 v[0:1], v[176:177], v[170:171]
	s_delay_alu instid0(VALU_DEP_3) | instskip(NEXT) | instid1(VALU_DEP_2)
	v_fma_f64 v[172:173], v[176:177], v[168:169], v[2:3]
	v_fma_f64 v[170:171], v[174:175], v[168:169], -v[0:1]
	v_mul_f64 v[0:1], v[196:197], v[166:167]
	ds_load_b128 v[166:169], v255 offset:5824
	v_fma_f64 v[174:175], v[196:197], v[164:165], -v[4:5]
	v_add_co_u32 v4, s1, 0x8000, v12
	s_delay_alu instid0(VALU_DEP_1)
	v_add_co_ci_u32_e64 v5, s1, 0, v13, s1
	v_fma_f64 v[176:177], v[198:199], v[164:165], v[0:1]
	ds_load_b128 v[196:199], v255 offset:7280
	s_waitcnt vmcnt(1) lgkmcnt(1)
	v_mul_f64 v[0:1], v[168:169], v[182:183]
	v_mul_f64 v[2:3], v[166:167], v[182:183]
	s_delay_alu instid0(VALU_DEP_2) | instskip(NEXT) | instid1(VALU_DEP_2)
	v_fma_f64 v[164:165], v[166:167], v[180:181], -v[0:1]
	v_fma_f64 v[166:167], v[168:169], v[180:181], v[2:3]
	s_waitcnt vmcnt(0) lgkmcnt(0)
	v_mul_f64 v[0:1], v[198:199], v[186:187]
	global_load_b128 v[178:181], v[4:5], off offset:720
	v_mul_f64 v[2:3], v[196:197], v[186:187]
	v_fma_f64 v[182:183], v[196:197], v[184:185], -v[0:1]
	s_delay_alu instid0(VALU_DEP_2)
	v_fma_f64 v[184:185], v[198:199], v[184:185], v[2:3]
	global_load_b128 v[196:199], v[4:5], off offset:2176
	ds_load_b128 v[200:203], v255 offset:8736
	ds_load_b128 v[204:207], v255 offset:10192
	s_waitcnt vmcnt(1) lgkmcnt(1)
	v_mul_f64 v[0:1], v[202:203], v[180:181]
	v_mul_f64 v[2:3], v[200:201], v[180:181]
	s_delay_alu instid0(VALU_DEP_2) | instskip(NEXT) | instid1(VALU_DEP_2)
	v_fma_f64 v[200:201], v[200:201], v[178:179], -v[0:1]
	v_fma_f64 v[202:203], v[202:203], v[178:179], v[2:3]
	s_waitcnt vmcnt(0) lgkmcnt(0)
	v_mul_f64 v[0:1], v[206:207], v[198:199]
	v_mul_f64 v[2:3], v[204:205], v[198:199]
	s_delay_alu instid0(VALU_DEP_2) | instskip(NEXT) | instid1(VALU_DEP_2)
	v_fma_f64 v[178:179], v[204:205], v[196:197], -v[0:1]
	v_fma_f64 v[180:181], v[206:207], v[196:197], v[2:3]
	global_load_b128 v[196:199], v[4:5], off offset:3632
	v_add_co_u32 v0, s1, 0x9000, v12
	s_delay_alu instid0(VALU_DEP_1)
	v_add_co_ci_u32_e64 v1, s1, 0, v13, s1
	global_load_b128 v[204:207], v[0:1], off offset:992
	ds_load_b128 v[208:211], v255 offset:11648
	ds_load_b128 v[212:215], v255 offset:13104
	s_waitcnt vmcnt(1) lgkmcnt(1)
	v_mul_f64 v[2:3], v[210:211], v[198:199]
	v_mul_f64 v[4:5], v[208:209], v[198:199]
	s_delay_alu instid0(VALU_DEP_2) | instskip(NEXT) | instid1(VALU_DEP_2)
	v_fma_f64 v[208:209], v[208:209], v[196:197], -v[2:3]
	v_fma_f64 v[210:211], v[210:211], v[196:197], v[4:5]
	s_waitcnt vmcnt(0) lgkmcnt(0)
	v_mul_f64 v[2:3], v[214:215], v[206:207]
	v_mul_f64 v[4:5], v[212:213], v[206:207]
	s_delay_alu instid0(VALU_DEP_2) | instskip(NEXT) | instid1(VALU_DEP_2)
	v_fma_f64 v[196:197], v[212:213], v[204:205], -v[2:3]
	v_fma_f64 v[198:199], v[214:215], v[204:205], v[4:5]
	s_clause 0x1
	global_load_b128 v[204:207], v[0:1], off offset:2448
	global_load_b128 v[212:215], v[0:1], off offset:3904
	ds_load_b128 v[216:219], v255 offset:14560
	ds_load_b128 v[220:223], v255 offset:16016
	s_waitcnt vmcnt(1) lgkmcnt(1)
	v_mul_f64 v[0:1], v[218:219], v[206:207]
	v_mul_f64 v[2:3], v[216:217], v[206:207]
	s_delay_alu instid0(VALU_DEP_2) | instskip(SKIP_2) | instid1(VALU_DEP_3)
	v_fma_f64 v[216:217], v[216:217], v[204:205], -v[0:1]
	s_waitcnt vmcnt(0) lgkmcnt(0)
	v_mul_f64 v[0:1], v[222:223], v[214:215]
	v_fma_f64 v[218:219], v[218:219], v[204:205], v[2:3]
	v_mul_f64 v[2:3], v[220:221], v[214:215]
	s_delay_alu instid0(VALU_DEP_3) | instskip(SKIP_1) | instid1(VALU_DEP_1)
	v_fma_f64 v[204:205], v[220:221], v[212:213], -v[0:1]
	v_add_co_u32 v0, s1, 0xa000, v12
	v_add_co_ci_u32_e64 v1, s1, 0, v13, s1
	s_delay_alu instid0(VALU_DEP_4)
	v_fma_f64 v[206:207], v[222:223], v[212:213], v[2:3]
	s_clause 0x1
	global_load_b128 v[212:215], v[0:1], off offset:1264
	global_load_b128 v[220:223], v[0:1], off offset:2720
	ds_load_b128 v[224:227], v255 offset:17472
	ds_load_b128 v[228:231], v255 offset:18928
	s_waitcnt vmcnt(1) lgkmcnt(1)
	v_mul_f64 v[0:1], v[226:227], v[214:215]
	v_mul_f64 v[2:3], v[224:225], v[214:215]
	s_delay_alu instid0(VALU_DEP_2) | instskip(SKIP_2) | instid1(VALU_DEP_3)
	v_fma_f64 v[224:225], v[224:225], v[212:213], -v[0:1]
	s_waitcnt vmcnt(0) lgkmcnt(0)
	v_mul_f64 v[0:1], v[230:231], v[222:223]
	v_fma_f64 v[226:227], v[226:227], v[212:213], v[2:3]
	v_mul_f64 v[2:3], v[228:229], v[222:223]
	s_delay_alu instid0(VALU_DEP_3) | instskip(SKIP_1) | instid1(VALU_DEP_1)
	v_fma_f64 v[212:213], v[228:229], v[220:221], -v[0:1]
	v_add_co_u32 v0, s1, 0xb000, v12
	v_add_co_ci_u32_e64 v1, s1, 0, v13, s1
	s_delay_alu instid0(VALU_DEP_4)
	v_fma_f64 v[214:215], v[230:231], v[220:221], v[2:3]
	s_clause 0x1
	global_load_b128 v[12:15], v[0:1], off offset:80
	global_load_b128 v[220:223], v[0:1], off offset:1536
	ds_load_b128 v[228:231], v255 offset:20384
	ds_load_b128 v[232:235], v255 offset:21840
	s_waitcnt vmcnt(1) lgkmcnt(1)
	v_mul_f64 v[2:3], v[230:231], v[14:15]
	v_mul_f64 v[4:5], v[228:229], v[14:15]
	s_delay_alu instid0(VALU_DEP_2) | instskip(NEXT) | instid1(VALU_DEP_2)
	v_fma_f64 v[228:229], v[228:229], v[12:13], -v[2:3]
	v_fma_f64 v[230:231], v[230:231], v[12:13], v[4:5]
	s_waitcnt vmcnt(0) lgkmcnt(0)
	v_mul_f64 v[2:3], v[234:235], v[222:223]
	v_mul_f64 v[4:5], v[232:233], v[222:223]
	s_delay_alu instid0(VALU_DEP_2) | instskip(NEXT) | instid1(VALU_DEP_2)
	v_fma_f64 v[12:13], v[232:233], v[220:221], -v[2:3]
	v_fma_f64 v[14:15], v[234:235], v[220:221], v[4:5]
	global_load_b128 v[220:223], v[0:1], off offset:2992
	ds_load_b128 v[232:235], v255 offset:23296
	s_waitcnt vmcnt(0) lgkmcnt(0)
	v_mul_f64 v[0:1], v[234:235], v[222:223]
	v_mul_f64 v[2:3], v[232:233], v[222:223]
	s_delay_alu instid0(VALU_DEP_2) | instskip(NEXT) | instid1(VALU_DEP_2)
	v_fma_f64 v[232:233], v[232:233], v[220:221], -v[0:1]
	v_fma_f64 v[234:235], v[234:235], v[220:221], v[2:3]
	ds_store_b128 v255, v[188:191]
	ds_store_b128 v255, v[192:195] offset:1456
	ds_store_b128 v255, v[170:173] offset:2912
	;; [unrolled: 1-line block ×16, first 2 shown]
.LBB0_13:
	s_or_b32 exec_lo, exec_lo, s2
	s_waitcnt lgkmcnt(0)
	s_barrier
	buffer_gl0_inv
	s_and_saveexec_b32 s1, vcc_lo
	s_cbranch_execz .LBB0_15
; %bb.14:
	ds_load_b128 v[112:115], v255
	ds_load_b128 v[156:159], v255 offset:1456
	ds_load_b128 v[120:123], v255 offset:2912
	;; [unrolled: 1-line block ×14, first 2 shown]
	s_waitcnt lgkmcnt(0)
	scratch_store_b128 off, v[0:3], off offset:44 ; 16-byte Folded Spill
	ds_load_b128 v[0:3], v255 offset:21840
	s_waitcnt lgkmcnt(0)
	scratch_store_b128 off, v[0:3], off offset:28 ; 16-byte Folded Spill
	ds_load_b128 v[0:3], v255 offset:23296
	s_waitcnt lgkmcnt(0)
	scratch_store_b128 off, v[0:3], off offset:12 ; 16-byte Folded Spill
.LBB0_15:
	s_or_b32 exec_lo, exec_lo, s1
	s_clause 0x1
	scratch_load_b128 v[35:38], off, off offset:12
	scratch_load_b128 v[39:42], off, off offset:28
	s_mov_b32 s18, 0xeb564b22
	s_mov_b32 s19, 0xbfefdd0d
	;; [unrolled: 1-line block ×24, first 2 shown]
	scratch_load_b128 v[43:46], off, off offset:44 ; 16-byte Folded Reload
	s_mov_b32 s46, 0x7c9e640b
	s_mov_b32 s47, 0x3feca52d
	;; [unrolled: 1-line block ×20, first 2 shown]
	v_add_f64 v[251:252], v[130:131], -v[110:111]
	v_add_f64 v[237:238], v[128:129], v[108:109]
	v_add_f64 v[239:240], v[130:131], v[110:111]
	v_add_f64 v[241:242], v[128:129], -v[108:109]
	s_mov_b32 s59, 0x3fe9895b
	s_mov_b32 s58, s22
	v_add_f64 v[233:234], v[134:135], -v[118:119]
	v_add_f64 v[253:254], v[132:133], v[116:117]
	v_add_f64 v[213:214], v[134:135], v[118:119]
	v_add_f64 v[219:220], v[132:133], -v[116:117]
	s_mov_b32 s57, 0xbfe58eea
	s_mov_b32 s56, s52
	v_add_f64 v[221:222], v[138:139], -v[146:147]
	v_add_f64 v[235:236], v[136:137], v[144:145]
	v_add_f64 v[243:244], v[138:139], v[146:147]
	v_add_f64 v[247:248], v[136:137], -v[144:145]
	v_add_f64 v[215:216], v[142:143], -v[150:151]
	v_add_f64 v[227:228], v[140:141], v[148:149]
	v_add_f64 v[229:230], v[142:143], v[150:151]
	v_add_f64 v[249:250], v[140:141], -v[148:149]
	v_add_f64 v[245:246], v[152:153], v[160:161]
	v_add_f64 v[217:218], v[154:155], v[162:163]
	v_add_f64 v[223:224], v[152:153], -v[160:161]
	v_mul_f64 v[83:84], v[251:252], s[48:49]
	v_mul_f64 v[87:88], v[251:252], s[38:39]
	;; [unrolled: 1-line block ×8, first 2 shown]
	s_waitcnt vmcnt(2)
	v_add_f64 v[201:202], v[158:159], -v[37:38]
	v_add_f64 v[199:200], v[156:157], v[35:36]
	v_add_f64 v[203:204], v[158:159], v[37:38]
	s_waitcnt vmcnt(1)
	v_add_f64 v[207:208], v[122:123], -v[41:42]
	v_add_f64 v[205:206], v[156:157], -v[35:36]
	v_add_f64 v[193:194], v[120:121], v[39:40]
	v_add_f64 v[195:196], v[122:123], v[41:42]
	v_add_f64 v[197:198], v[120:121], -v[39:40]
	s_waitcnt vmcnt(0)
	v_add_f64 v[231:232], v[126:127], -v[45:46]
	v_add_f64 v[209:210], v[124:125], v[43:44]
	v_add_f64 v[211:212], v[126:127], v[45:46]
	v_add_f64 v[225:226], v[124:125], -v[43:44]
	v_mul_f64 v[47:48], v[201:202], s[18:19]
	v_mul_f64 v[51:52], v[201:202], s[20:21]
	;; [unrolled: 1-line block ×22, first 2 shown]
	v_fma_f64 v[0:1], v[199:200], s[2:3], -v[47:48]
	v_fma_f64 v[4:5], v[199:200], s[8:9], -v[51:52]
	v_fma_f64 v[2:3], v[205:206], s[18:19], v[49:50]
	v_fma_f64 v[29:30], v[193:194], s[26:27], -v[63:64]
	v_fma_f64 v[6:7], v[205:206], s[20:21], v[53:54]
	;; [unrolled: 2-line block ×3, first 2 shown]
	v_fma_f64 v[14:15], v[199:200], s[16:17], v[12:13]
	v_fma_f64 v[12:13], v[199:200], s[16:17], -v[12:13]
	v_fma_f64 v[19:20], v[205:206], s[30:31], v[17:18]
	v_fma_f64 v[17:18], v[205:206], s[24:25], v[17:18]
	;; [unrolled: 1-line block ×3, first 2 shown]
	v_fma_f64 v[21:22], v[199:200], s[26:27], -v[21:22]
	v_fma_f64 v[27:28], v[205:206], s[34:35], v[25:26]
	v_fma_f64 v[25:26], v[205:206], s[28:29], v[25:26]
	v_add_f64 v[0:1], v[112:113], v[0:1]
	v_add_f64 v[4:5], v[112:113], v[4:5]
	;; [unrolled: 1-line block ×15, first 2 shown]
	v_fma_f64 v[29:30], v[197:198], s[28:29], v[65:66]
	s_delay_alu instid0(VALU_DEP_1) | instskip(SKIP_1) | instid1(VALU_DEP_1)
	v_add_f64 v[2:3], v[29:30], v[2:3]
	v_fma_f64 v[29:30], v[193:194], s[16:17], -v[67:68]
	v_add_f64 v[4:5], v[29:30], v[4:5]
	v_fma_f64 v[29:30], v[197:198], s[30:31], v[69:70]
	s_delay_alu instid0(VALU_DEP_1) | instskip(SKIP_1) | instid1(VALU_DEP_1)
	v_add_f64 v[6:7], v[29:30], v[6:7]
	v_fma_f64 v[29:30], v[193:194], s[8:9], -v[61:62]
	v_add_f64 v[8:9], v[29:30], v[8:9]
	v_fma_f64 v[29:30], v[197:198], s[42:43], v[59:60]
	s_delay_alu instid0(VALU_DEP_1) | instskip(SKIP_1) | instid1(VALU_DEP_1)
	v_add_f64 v[10:11], v[29:30], v[10:11]
	v_mul_f64 v[29:30], v[207:208], s[46:47]
	v_fma_f64 v[31:32], v[193:194], s[36:37], v[29:30]
	v_fma_f64 v[29:30], v[193:194], s[36:37], -v[29:30]
	s_delay_alu instid0(VALU_DEP_2) | instskip(SKIP_1) | instid1(VALU_DEP_3)
	v_add_f64 v[14:15], v[31:32], v[14:15]
	v_mul_f64 v[31:32], v[195:196], s[36:37]
	v_add_f64 v[12:13], v[29:30], v[12:13]
	s_delay_alu instid0(VALU_DEP_2) | instskip(SKIP_1) | instid1(VALU_DEP_2)
	v_fma_f64 v[29:30], v[197:198], s[46:47], v[31:32]
	v_fma_f64 v[33:34], v[197:198], s[38:39], v[31:32]
	v_add_f64 v[17:18], v[29:30], v[17:18]
	v_mul_f64 v[29:30], v[207:208], s[48:49]
	s_delay_alu instid0(VALU_DEP_3) | instskip(NEXT) | instid1(VALU_DEP_2)
	v_add_f64 v[19:20], v[33:34], v[19:20]
	v_fma_f64 v[31:32], v[193:194], s[40:41], v[29:30]
	v_fma_f64 v[29:30], v[193:194], s[40:41], -v[29:30]
	s_delay_alu instid0(VALU_DEP_2) | instskip(SKIP_1) | instid1(VALU_DEP_3)
	v_add_f64 v[23:24], v[31:32], v[23:24]
	v_mul_f64 v[31:32], v[195:196], s[40:41]
	v_add_f64 v[21:22], v[29:30], v[21:22]
	s_delay_alu instid0(VALU_DEP_2) | instskip(SKIP_1) | instid1(VALU_DEP_2)
	v_fma_f64 v[29:30], v[197:198], s[48:49], v[31:32]
	v_fma_f64 v[33:34], v[197:198], s[44:45], v[31:32]
	v_add_f64 v[25:26], v[29:30], v[25:26]
	v_fma_f64 v[29:30], v[209:210], s[8:9], -v[71:72]
	s_delay_alu instid0(VALU_DEP_3) | instskip(NEXT) | instid1(VALU_DEP_2)
	v_add_f64 v[27:28], v[33:34], v[27:28]
	v_add_f64 v[0:1], v[29:30], v[0:1]
	v_fma_f64 v[29:30], v[225:226], s[42:43], v[73:74]
	s_delay_alu instid0(VALU_DEP_1) | instskip(SKIP_1) | instid1(VALU_DEP_1)
	v_add_f64 v[2:3], v[29:30], v[2:3]
	v_fma_f64 v[29:30], v[209:210], s[50:51], -v[75:76]
	v_add_f64 v[4:5], v[29:30], v[4:5]
	v_fma_f64 v[29:30], v[225:226], s[52:53], v[77:78]
	s_delay_alu instid0(VALU_DEP_1) | instskip(SKIP_1) | instid1(VALU_DEP_1)
	v_add_f64 v[6:7], v[29:30], v[6:7]
	v_fma_f64 v[29:30], v[209:210], s[40:41], -v[79:80]
	v_add_f64 v[8:9], v[29:30], v[8:9]
	v_fma_f64 v[29:30], v[225:226], s[44:45], v[81:82]
	s_delay_alu instid0(VALU_DEP_1) | instskip(SKIP_1) | instid1(VALU_DEP_1)
	v_add_f64 v[10:11], v[29:30], v[10:11]
	v_mul_f64 v[29:30], v[231:232], s[18:19]
	v_fma_f64 v[31:32], v[209:210], s[2:3], v[29:30]
	v_fma_f64 v[29:30], v[209:210], s[2:3], -v[29:30]
	s_delay_alu instid0(VALU_DEP_2) | instskip(SKIP_1) | instid1(VALU_DEP_3)
	v_add_f64 v[14:15], v[31:32], v[14:15]
	v_mul_f64 v[31:32], v[211:212], s[2:3]
	v_add_f64 v[12:13], v[29:30], v[12:13]
	s_delay_alu instid0(VALU_DEP_2) | instskip(SKIP_1) | instid1(VALU_DEP_2)
	v_fma_f64 v[29:30], v[225:226], s[18:19], v[31:32]
	v_fma_f64 v[33:34], v[225:226], s[54:55], v[31:32]
	v_add_f64 v[17:18], v[29:30], v[17:18]
	v_mul_f64 v[29:30], v[231:232], s[24:25]
	s_delay_alu instid0(VALU_DEP_3) | instskip(NEXT) | instid1(VALU_DEP_2)
	v_add_f64 v[19:20], v[33:34], v[19:20]
	v_fma_f64 v[31:32], v[209:210], s[16:17], v[29:30]
	v_fma_f64 v[29:30], v[209:210], s[16:17], -v[29:30]
	s_delay_alu instid0(VALU_DEP_2) | instskip(SKIP_1) | instid1(VALU_DEP_3)
	v_add_f64 v[23:24], v[31:32], v[23:24]
	v_mul_f64 v[31:32], v[211:212], s[16:17]
	v_add_f64 v[21:22], v[29:30], v[21:22]
	s_delay_alu instid0(VALU_DEP_2) | instskip(SKIP_1) | instid1(VALU_DEP_2)
	v_fma_f64 v[29:30], v[225:226], s[24:25], v[31:32]
	v_fma_f64 v[33:34], v[225:226], s[30:31], v[31:32]
	v_add_f64 v[25:26], v[29:30], v[25:26]
	v_fma_f64 v[29:30], v[237:238], s[40:41], -v[83:84]
	s_delay_alu instid0(VALU_DEP_3) | instskip(NEXT) | instid1(VALU_DEP_2)
	v_add_f64 v[27:28], v[33:34], v[27:28]
	v_add_f64 v[0:1], v[29:30], v[0:1]
	v_fma_f64 v[29:30], v[241:242], s[48:49], v[85:86]
	s_delay_alu instid0(VALU_DEP_1) | instskip(SKIP_1) | instid1(VALU_DEP_1)
	v_add_f64 v[2:3], v[29:30], v[2:3]
	v_fma_f64 v[29:30], v[237:238], s[36:37], -v[87:88]
	v_add_f64 v[4:5], v[29:30], v[4:5]
	v_fma_f64 v[29:30], v[241:242], s[38:39], v[89:90]
	s_delay_alu instid0(VALU_DEP_1) | instskip(SKIP_1) | instid1(VALU_DEP_1)
	v_add_f64 v[6:7], v[29:30], v[6:7]
	v_fma_f64 v[29:30], v[237:238], s[16:17], -v[91:92]
	v_add_f64 v[8:9], v[29:30], v[8:9]
	v_fma_f64 v[29:30], v[241:242], s[24:25], v[93:94]
	s_delay_alu instid0(VALU_DEP_1) | instskip(SKIP_1) | instid1(VALU_DEP_1)
	v_add_f64 v[10:11], v[29:30], v[10:11]
	v_mul_f64 v[29:30], v[251:252], s[58:59]
	v_fma_f64 v[31:32], v[237:238], s[10:11], v[29:30]
	v_fma_f64 v[29:30], v[237:238], s[10:11], -v[29:30]
	s_delay_alu instid0(VALU_DEP_2) | instskip(SKIP_1) | instid1(VALU_DEP_3)
	v_add_f64 v[14:15], v[31:32], v[14:15]
	v_mul_f64 v[31:32], v[239:240], s[10:11]
	v_add_f64 v[12:13], v[29:30], v[12:13]
	s_delay_alu instid0(VALU_DEP_2) | instskip(SKIP_1) | instid1(VALU_DEP_2)
	v_fma_f64 v[29:30], v[241:242], s[58:59], v[31:32]
	v_fma_f64 v[33:34], v[241:242], s[22:23], v[31:32]
	v_add_f64 v[17:18], v[29:30], v[17:18]
	v_mul_f64 v[29:30], v[251:252], s[52:53]
	s_delay_alu instid0(VALU_DEP_3) | instskip(NEXT) | instid1(VALU_DEP_2)
	v_add_f64 v[19:20], v[33:34], v[19:20]
	v_fma_f64 v[31:32], v[237:238], s[50:51], v[29:30]
	v_fma_f64 v[29:30], v[237:238], s[50:51], -v[29:30]
	s_delay_alu instid0(VALU_DEP_2) | instskip(SKIP_1) | instid1(VALU_DEP_3)
	v_add_f64 v[23:24], v[31:32], v[23:24]
	v_mul_f64 v[31:32], v[239:240], s[50:51]
	v_add_f64 v[21:22], v[29:30], v[21:22]
	s_delay_alu instid0(VALU_DEP_2) | instskip(SKIP_2) | instid1(VALU_DEP_3)
	v_fma_f64 v[29:30], v[241:242], s[52:53], v[31:32]
	v_fma_f64 v[33:34], v[241:242], s[56:57], v[31:32]
	v_mul_f64 v[31:32], v[213:214], s[26:27]
	v_add_f64 v[25:26], v[29:30], v[25:26]
	v_fma_f64 v[29:30], v[253:254], s[36:37], -v[95:96]
	s_delay_alu instid0(VALU_DEP_4) | instskip(NEXT) | instid1(VALU_DEP_2)
	v_add_f64 v[27:28], v[33:34], v[27:28]
	v_add_f64 v[0:1], v[29:30], v[0:1]
	v_fma_f64 v[29:30], v[219:220], s[38:39], v[97:98]
	s_delay_alu instid0(VALU_DEP_1) | instskip(SKIP_3) | instid1(VALU_DEP_1)
	v_add_f64 v[2:3], v[29:30], v[2:3]
	v_mul_f64 v[29:30], v[233:234], s[28:29]
	scratch_store_b64 off, v[29:30], off offset:432 ; 8-byte Folded Spill
	v_fma_f64 v[29:30], v[253:254], s[26:27], -v[29:30]
	v_add_f64 v[4:5], v[29:30], v[4:5]
	v_fma_f64 v[29:30], v[219:220], s[28:29], v[31:32]
	s_delay_alu instid0(VALU_DEP_1)
	v_add_f64 v[6:7], v[29:30], v[6:7]
	v_mul_f64 v[29:30], v[233:234], s[54:55]
	scratch_store_b64 off, v[31:32], off offset:440 ; 8-byte Folded Spill
	v_mul_f64 v[31:32], v[213:214], s[2:3]
	scratch_store_b64 off, v[29:30], off offset:448 ; 8-byte Folded Spill
	v_fma_f64 v[29:30], v[253:254], s[2:3], -v[29:30]
	scratch_store_b64 off, v[31:32], off offset:456 ; 8-byte Folded Spill
	v_add_f64 v[8:9], v[29:30], v[8:9]
	v_fma_f64 v[29:30], v[219:220], s[54:55], v[31:32]
	s_delay_alu instid0(VALU_DEP_1) | instskip(SKIP_1) | instid1(VALU_DEP_1)
	v_add_f64 v[10:11], v[29:30], v[10:11]
	v_mul_f64 v[29:30], v[233:234], s[44:45]
	v_fma_f64 v[31:32], v[253:254], s[40:41], v[29:30]
	v_fma_f64 v[29:30], v[253:254], s[40:41], -v[29:30]
	s_delay_alu instid0(VALU_DEP_2) | instskip(SKIP_1) | instid1(VALU_DEP_3)
	v_add_f64 v[14:15], v[31:32], v[14:15]
	v_mul_f64 v[31:32], v[213:214], s[40:41]
	v_add_f64 v[12:13], v[29:30], v[12:13]
	s_delay_alu instid0(VALU_DEP_2) | instskip(SKIP_1) | instid1(VALU_DEP_2)
	v_fma_f64 v[29:30], v[219:220], s[44:45], v[31:32]
	v_fma_f64 v[33:34], v[219:220], s[48:49], v[31:32]
	v_add_f64 v[17:18], v[29:30], v[17:18]
	v_mul_f64 v[29:30], v[233:234], s[22:23]
	s_delay_alu instid0(VALU_DEP_3) | instskip(NEXT) | instid1(VALU_DEP_2)
	v_add_f64 v[19:20], v[33:34], v[19:20]
	v_fma_f64 v[31:32], v[253:254], s[10:11], v[29:30]
	v_fma_f64 v[29:30], v[253:254], s[10:11], -v[29:30]
	s_delay_alu instid0(VALU_DEP_2) | instskip(SKIP_1) | instid1(VALU_DEP_3)
	v_add_f64 v[23:24], v[31:32], v[23:24]
	v_mul_f64 v[31:32], v[213:214], s[10:11]
	v_add_f64 v[21:22], v[29:30], v[21:22]
	s_delay_alu instid0(VALU_DEP_2) | instskip(SKIP_2) | instid1(VALU_DEP_3)
	v_fma_f64 v[29:30], v[219:220], s[22:23], v[31:32]
	v_fma_f64 v[33:34], v[219:220], s[58:59], v[31:32]
	v_mul_f64 v[31:32], v[243:244], s[16:17]
	v_add_f64 v[25:26], v[29:30], v[25:26]
	v_mul_f64 v[29:30], v[221:222], s[24:25]
	s_delay_alu instid0(VALU_DEP_4) | instskip(SKIP_2) | instid1(VALU_DEP_1)
	v_add_f64 v[27:28], v[33:34], v[27:28]
	scratch_store_b64 off, v[29:30], off offset:464 ; 8-byte Folded Spill
	v_fma_f64 v[29:30], v[235:236], s[16:17], -v[29:30]
	v_add_f64 v[0:1], v[29:30], v[0:1]
	v_fma_f64 v[29:30], v[247:248], s[24:25], v[31:32]
	s_delay_alu instid0(VALU_DEP_1)
	v_add_f64 v[2:3], v[29:30], v[2:3]
	v_mul_f64 v[29:30], v[221:222], s[54:55]
	scratch_store_b64 off, v[31:32], off offset:472 ; 8-byte Folded Spill
	v_mul_f64 v[31:32], v[243:244], s[2:3]
	scratch_store_b64 off, v[29:30], off offset:480 ; 8-byte Folded Spill
	v_fma_f64 v[29:30], v[235:236], s[2:3], -v[29:30]
	scratch_store_b64 off, v[31:32], off offset:488 ; 8-byte Folded Spill
	v_add_f64 v[4:5], v[29:30], v[4:5]
	v_fma_f64 v[29:30], v[247:248], s[54:55], v[31:32]
	v_mul_f64 v[31:32], v[243:244], s[50:51]
	s_delay_alu instid0(VALU_DEP_2)
	v_add_f64 v[6:7], v[29:30], v[6:7]
	v_mul_f64 v[29:30], v[221:222], s[56:57]
	s_clause 0x1
	scratch_store_b64 off, v[31:32], off offset:504
	scratch_store_b64 off, v[29:30], off offset:496
	v_fma_f64 v[29:30], v[235:236], s[50:51], -v[29:30]
	s_delay_alu instid0(VALU_DEP_1) | instskip(SKIP_1) | instid1(VALU_DEP_1)
	v_add_f64 v[8:9], v[29:30], v[8:9]
	v_fma_f64 v[29:30], v[247:248], s[56:57], v[31:32]
	v_add_f64 v[10:11], v[29:30], v[10:11]
	v_mul_f64 v[29:30], v[221:222], s[28:29]
	s_delay_alu instid0(VALU_DEP_1) | instskip(SKIP_1) | instid1(VALU_DEP_2)
	v_fma_f64 v[31:32], v[235:236], s[26:27], v[29:30]
	v_fma_f64 v[29:30], v[235:236], s[26:27], -v[29:30]
	v_add_f64 v[14:15], v[31:32], v[14:15]
	v_mul_f64 v[31:32], v[243:244], s[26:27]
	s_delay_alu instid0(VALU_DEP_3) | instskip(NEXT) | instid1(VALU_DEP_2)
	v_add_f64 v[12:13], v[29:30], v[12:13]
	v_fma_f64 v[29:30], v[247:248], s[28:29], v[31:32]
	v_fma_f64 v[33:34], v[247:248], s[34:35], v[31:32]
	s_delay_alu instid0(VALU_DEP_2) | instskip(SKIP_1) | instid1(VALU_DEP_3)
	v_add_f64 v[17:18], v[29:30], v[17:18]
	v_mul_f64 v[29:30], v[221:222], s[46:47]
	v_add_f64 v[19:20], v[33:34], v[19:20]
	s_delay_alu instid0(VALU_DEP_2) | instskip(SKIP_1) | instid1(VALU_DEP_2)
	v_fma_f64 v[31:32], v[235:236], s[36:37], v[29:30]
	v_fma_f64 v[29:30], v[235:236], s[36:37], -v[29:30]
	v_add_f64 v[23:24], v[31:32], v[23:24]
	v_mul_f64 v[31:32], v[243:244], s[36:37]
	s_delay_alu instid0(VALU_DEP_3) | instskip(NEXT) | instid1(VALU_DEP_2)
	v_add_f64 v[21:22], v[29:30], v[21:22]
	v_fma_f64 v[33:34], v[247:248], s[38:39], v[31:32]
	v_fma_f64 v[29:30], v[247:248], s[46:47], v[31:32]
	v_mul_f64 v[31:32], v[229:230], s[10:11]
	s_delay_alu instid0(VALU_DEP_3) | instskip(SKIP_1) | instid1(VALU_DEP_4)
	v_add_f64 v[27:28], v[33:34], v[27:28]
	v_mul_f64 v[33:34], v[215:216], s[58:59]
	v_add_f64 v[25:26], v[29:30], v[25:26]
	s_delay_alu instid0(VALU_DEP_2) | instskip(NEXT) | instid1(VALU_DEP_1)
	v_fma_f64 v[29:30], v[227:228], s[10:11], -v[33:34]
	v_add_f64 v[0:1], v[29:30], v[0:1]
	v_fma_f64 v[29:30], v[249:250], s[58:59], v[31:32]
	s_delay_alu instid0(VALU_DEP_1)
	v_add_f64 v[2:3], v[29:30], v[2:3]
	v_mul_f64 v[29:30], v[215:216], s[44:45]
	scratch_store_b64 off, v[31:32], off offset:512 ; 8-byte Folded Spill
	v_mul_f64 v[31:32], v[229:230], s[40:41]
	scratch_store_b64 off, v[29:30], off offset:520 ; 8-byte Folded Spill
	v_fma_f64 v[29:30], v[227:228], s[40:41], -v[29:30]
	s_delay_alu instid0(VALU_DEP_1) | instskip(SKIP_1) | instid1(VALU_DEP_1)
	v_add_f64 v[4:5], v[29:30], v[4:5]
	v_fma_f64 v[29:30], v[249:250], s[44:45], v[31:32]
	v_add_f64 v[6:7], v[29:30], v[6:7]
	v_mul_f64 v[29:30], v[215:216], s[28:29]
	scratch_store_b64 off, v[31:32], off offset:528 ; 8-byte Folded Spill
	v_mul_f64 v[31:32], v[229:230], s[26:27]
	scratch_store_b64 off, v[29:30], off offset:536 ; 8-byte Folded Spill
	v_fma_f64 v[29:30], v[227:228], s[26:27], -v[29:30]
	scratch_store_b64 off, v[31:32], off offset:544 ; 8-byte Folded Spill
	s_waitcnt_vscnt null, 0x0
	s_barrier
	buffer_gl0_inv
	v_add_f64 v[8:9], v[29:30], v[8:9]
	v_fma_f64 v[29:30], v[249:250], s[28:29], v[31:32]
	s_delay_alu instid0(VALU_DEP_1) | instskip(SKIP_1) | instid1(VALU_DEP_1)
	v_add_f64 v[10:11], v[29:30], v[10:11]
	v_mul_f64 v[29:30], v[215:216], s[52:53]
	v_fma_f64 v[31:32], v[227:228], s[50:51], v[29:30]
	s_delay_alu instid0(VALU_DEP_1) | instskip(SKIP_1) | instid1(VALU_DEP_1)
	v_add_f64 v[176:177], v[31:32], v[14:15]
	v_mul_f64 v[14:15], v[229:230], s[50:51]
	v_fma_f64 v[31:32], v[249:250], s[56:57], v[14:15]
	s_delay_alu instid0(VALU_DEP_1) | instskip(SKIP_1) | instid1(VALU_DEP_1)
	v_add_f64 v[178:179], v[31:32], v[19:20]
	v_fma_f64 v[19:20], v[227:228], s[50:51], -v[29:30]
	v_add_f64 v[180:181], v[19:20], v[12:13]
	v_fma_f64 v[12:13], v[249:250], s[52:53], v[14:15]
	v_mul_f64 v[19:20], v[217:218], s[50:51]
	s_delay_alu instid0(VALU_DEP_2) | instskip(SKIP_1) | instid1(VALU_DEP_1)
	v_add_f64 v[182:183], v[12:13], v[17:18]
	v_mul_f64 v[12:13], v[215:216], s[20:21]
	v_fma_f64 v[14:15], v[227:228], s[8:9], v[12:13]
	v_fma_f64 v[12:13], v[227:228], s[8:9], -v[12:13]
	s_delay_alu instid0(VALU_DEP_2) | instskip(SKIP_1) | instid1(VALU_DEP_3)
	v_add_f64 v[184:185], v[14:15], v[23:24]
	v_mul_f64 v[14:15], v[229:230], s[8:9]
	v_add_f64 v[188:189], v[12:13], v[21:22]
	v_mul_f64 v[23:24], v[217:218], s[10:11]
	s_delay_alu instid0(VALU_DEP_3) | instskip(SKIP_1) | instid1(VALU_DEP_2)
	v_fma_f64 v[12:13], v[249:250], s[20:21], v[14:15]
	v_fma_f64 v[17:18], v[249:250], s[42:43], v[14:15]
	v_add_f64 v[190:191], v[12:13], v[25:26]
	v_add_f64 v[12:13], v[154:155], -v[162:163]
	s_delay_alu instid0(VALU_DEP_3) | instskip(NEXT) | instid1(VALU_DEP_2)
	v_add_f64 v[186:187], v[17:18], v[27:28]
	v_mul_f64 v[17:18], v[12:13], s[52:53]
	v_mul_f64 v[21:22], v[12:13], s[22:23]
	s_delay_alu instid0(VALU_DEP_2) | instskip(NEXT) | instid1(VALU_DEP_1)
	v_fma_f64 v[14:15], v[245:246], s[50:51], -v[17:18]
	v_add_f64 v[164:165], v[14:15], v[0:1]
	v_fma_f64 v[0:1], v[223:224], s[52:53], v[19:20]
	v_mul_f64 v[14:15], v[217:218], s[36:37]
	s_delay_alu instid0(VALU_DEP_2) | instskip(SKIP_1) | instid1(VALU_DEP_1)
	v_add_f64 v[166:167], v[0:1], v[2:3]
	v_fma_f64 v[0:1], v[245:246], s[10:11], -v[21:22]
	v_add_f64 v[168:169], v[0:1], v[4:5]
	v_fma_f64 v[0:1], v[223:224], s[22:23], v[23:24]
	s_delay_alu instid0(VALU_DEP_1) | instskip(SKIP_1) | instid1(VALU_DEP_1)
	v_add_f64 v[170:171], v[0:1], v[6:7]
	v_mul_f64 v[6:7], v[12:13], s[46:47]
	v_fma_f64 v[0:1], v[245:246], s[36:37], -v[6:7]
	s_delay_alu instid0(VALU_DEP_1) | instskip(SKIP_1) | instid1(VALU_DEP_1)
	v_add_f64 v[172:173], v[0:1], v[8:9]
	v_fma_f64 v[0:1], v[223:224], s[46:47], v[14:15]
	v_add_f64 v[174:175], v[0:1], v[10:11]
	v_mul_f64 v[0:1], v[12:13], s[20:21]
	s_delay_alu instid0(VALU_DEP_1) | instskip(SKIP_1) | instid1(VALU_DEP_2)
	v_fma_f64 v[2:3], v[245:246], s[8:9], v[0:1]
	v_fma_f64 v[0:1], v[245:246], s[8:9], -v[0:1]
	v_add_f64 v[176:177], v[2:3], v[176:177]
	v_mul_f64 v[2:3], v[217:218], s[8:9]
	s_delay_alu instid0(VALU_DEP_3) | instskip(NEXT) | instid1(VALU_DEP_2)
	v_add_f64 v[180:181], v[0:1], v[180:181]
	v_fma_f64 v[0:1], v[223:224], s[20:21], v[2:3]
	v_fma_f64 v[4:5], v[223:224], s[42:43], v[2:3]
	s_delay_alu instid0(VALU_DEP_2) | instskip(SKIP_1) | instid1(VALU_DEP_3)
	v_add_f64 v[182:183], v[0:1], v[182:183]
	v_mul_f64 v[0:1], v[12:13], s[54:55]
	v_add_f64 v[178:179], v[4:5], v[178:179]
	s_delay_alu instid0(VALU_DEP_2) | instskip(SKIP_1) | instid1(VALU_DEP_2)
	v_fma_f64 v[2:3], v[245:246], s[2:3], v[0:1]
	v_fma_f64 v[0:1], v[245:246], s[2:3], -v[0:1]
	v_add_f64 v[184:185], v[2:3], v[184:185]
	v_mul_f64 v[2:3], v[217:218], s[2:3]
	s_delay_alu instid0(VALU_DEP_3) | instskip(NEXT) | instid1(VALU_DEP_2)
	v_add_f64 v[188:189], v[0:1], v[188:189]
	v_fma_f64 v[4:5], v[223:224], s[18:19], v[2:3]
	v_fma_f64 v[0:1], v[223:224], s[54:55], v[2:3]
	s_delay_alu instid0(VALU_DEP_2) | instskip(NEXT) | instid1(VALU_DEP_2)
	v_add_f64 v[186:187], v[4:5], v[186:187]
	v_add_f64 v[190:191], v[0:1], v[190:191]
	s_and_saveexec_b32 s1, vcc_lo
	s_cbranch_execz .LBB0_17
; %bb.16:
	v_add_f64 v[0:1], v[114:115], v[158:159]
	v_add_f64 v[2:3], v[112:113], v[156:157]
	v_mul_f64 v[10:11], v[199:200], s[8:9]
	v_mul_f64 v[8:9], v[205:206], s[20:21]
	;; [unrolled: 1-line block ×3, first 2 shown]
	v_add_f64 v[0:1], v[0:1], v[122:123]
	v_add_f64 v[2:3], v[2:3], v[120:121]
	v_dual_mov_b32 v123, v7 :: v_dual_mov_b32 v122, v6
	v_mul_f64 v[6:7], v[199:200], s[10:11]
	v_add_f64 v[10:11], v[10:11], v[51:52]
	v_mul_f64 v[51:52], v[197:198], s[42:43]
	v_add_f64 v[8:9], v[53:54], -v[8:9]
	v_mul_f64 v[53:54], v[253:254], s[2:3]
	v_dual_mov_b32 v121, v24 :: v_dual_mov_b32 v120, v23
	v_mul_f64 v[23:24], v[205:206], s[56:57]
	v_fma_f64 v[31:32], v[203:204], s[40:41], v[25:26]
	v_fma_f64 v[25:26], v[203:204], s[40:41], -v[25:26]
	v_add_f64 v[0:1], v[0:1], v[126:127]
	v_add_f64 v[2:3], v[2:3], v[124:125]
	;; [unrolled: 1-line block ×4, first 2 shown]
	v_add_f64 v[51:52], v[59:60], -v[51:52]
	v_mul_f64 v[59:60], v[193:194], s[8:9]
	v_add_f64 v[8:9], v[114:115], v[8:9]
	v_fma_f64 v[29:30], v[203:204], s[50:51], v[23:24]
	v_fma_f64 v[23:24], v[203:204], s[50:51], -v[23:24]
	v_add_f64 v[31:32], v[114:115], v[31:32]
	v_add_f64 v[25:26], v[114:115], v[25:26]
	;; [unrolled: 1-line block ×6, first 2 shown]
	v_mul_f64 v[61:62], v[247:248], s[56:57]
	v_add_f64 v[29:30], v[114:115], v[29:30]
	v_add_f64 v[23:24], v[114:115], v[23:24]
	;; [unrolled: 1-line block ×5, first 2 shown]
	scratch_load_b64 v[59:60], off, off offset:496 ; 8-byte Folded Reload
	v_add_f64 v[0:1], v[0:1], v[138:139]
	v_add_f64 v[2:3], v[2:3], v[136:137]
	s_delay_alu instid0(VALU_DEP_2) | instskip(NEXT) | instid1(VALU_DEP_2)
	v_add_f64 v[0:1], v[0:1], v[142:143]
	v_add_f64 v[2:3], v[2:3], v[140:141]
	s_delay_alu instid0(VALU_DEP_2) | instskip(NEXT) | instid1(VALU_DEP_2)
	;; [unrolled: 3-line block ×6, first 2 shown]
	v_add_f64 v[0:1], v[0:1], v[118:119]
	v_add_f64 v[2:3], v[2:3], v[116:117]
	v_dual_mov_b32 v117, v20 :: v_dual_mov_b32 v116, v19
	v_mul_f64 v[19:20], v[199:200], s[2:3]
	v_dual_mov_b32 v119, v22 :: v_dual_mov_b32 v118, v21
	v_mul_f64 v[21:22], v[205:206], s[38:39]
	v_add_f64 v[0:1], v[0:1], v[110:111]
	v_add_f64 v[2:3], v[2:3], v[108:109]
	v_dual_mov_b32 v111, v18 :: v_dual_mov_b32 v110, v17
	v_mul_f64 v[17:18], v[205:206], s[18:19]
	v_add_f64 v[19:20], v[19:20], v[47:48]
	scratch_load_b64 v[47:48], off, off offset:456 ; 8-byte Folded Reload
	v_dual_mov_b32 v109, v34 :: v_dual_mov_b32 v108, v33
	v_fma_f64 v[27:28], v[203:204], s[36:37], v[21:22]
	v_fma_f64 v[21:22], v[203:204], s[36:37], -v[21:22]
	v_mul_f64 v[33:34], v[201:202], s[38:39]
	v_add_f64 v[0:1], v[0:1], v[45:46]
	v_add_f64 v[2:3], v[2:3], v[43:44]
	v_mul_f64 v[45:46], v[219:220], s[54:55]
	v_add_f64 v[17:18], v[49:50], -v[17:18]
	v_mul_f64 v[49:50], v[225:226], s[44:45]
	v_add_f64 v[19:20], v[112:113], v[19:20]
	v_add_f64 v[27:28], v[114:115], v[27:28]
	;; [unrolled: 1-line block ×5, first 2 shown]
	v_fma_f64 v[39:40], v[199:200], s[36:37], -v[33:34]
	v_fma_f64 v[33:34], v[199:200], s[36:37], v[33:34]
	v_add_f64 v[17:18], v[114:115], v[17:18]
	v_add_f64 v[49:50], v[81:82], -v[49:50]
	v_add_f64 v[2:3], v[0:1], v[37:38]
	v_add_f64 v[0:1], v[4:5], v[35:36]
	v_mul_f64 v[4:5], v[205:206], s[22:23]
	v_mul_f64 v[35:36], v[201:202], s[56:57]
	;; [unrolled: 1-line block ×3, first 2 shown]
	v_add_f64 v[39:40], v[112:113], v[39:40]
	v_add_f64 v[33:34], v[112:113], v[33:34]
	v_add_f64 v[4:5], v[57:58], -v[4:5]
	v_mul_f64 v[57:58], v[209:210], s[40:41]
	v_fma_f64 v[41:42], v[199:200], s[50:51], -v[35:36]
	v_fma_f64 v[35:36], v[199:200], s[50:51], v[35:36]
	v_fma_f64 v[43:44], v[199:200], s[40:41], -v[37:38]
	v_fma_f64 v[37:38], v[199:200], s[40:41], v[37:38]
	v_add_f64 v[4:5], v[114:115], v[4:5]
	v_add_f64 v[57:58], v[57:58], v[79:80]
	scratch_load_b64 v[79:80], off, off offset:504 ; 8-byte Folded Reload
	v_add_f64 v[35:36], v[112:113], v[35:36]
	v_add_f64 v[41:42], v[112:113], v[41:42]
	;; [unrolled: 1-line block ×6, first 2 shown]
	scratch_load_b64 v[57:58], off, off offset:544 ; 8-byte Folded Reload
	v_mul_f64 v[51:52], v[235:236], s[50:51]
	v_add_f64 v[4:5], v[49:50], v[4:5]
	v_mul_f64 v[49:50], v[249:250], s[28:29]
	s_waitcnt vmcnt(0)
	s_delay_alu instid0(VALU_DEP_1) | instskip(SKIP_1) | instid1(VALU_DEP_1)
	v_add_f64 v[49:50], v[57:58], -v[49:50]
	v_mul_f64 v[57:58], v[193:194], s[16:17]
	v_add_f64 v[57:58], v[57:58], v[67:68]
	s_delay_alu instid0(VALU_DEP_1)
	v_add_f64 v[10:11], v[57:58], v[10:11]
	s_clause 0x1
	scratch_load_b64 v[57:58], off, off offset:480
	scratch_load_b64 v[55:56], off, off offset:448
	v_add_f64 v[45:46], v[47:48], -v[45:46]
	v_mul_f64 v[47:48], v[241:242], s[24:25]
	v_add_f64 v[51:52], v[51:52], v[59:60]
	v_mul_f64 v[59:60], v[247:248], s[54:55]
	s_delay_alu instid0(VALU_DEP_3) | instskip(NEXT) | instid1(VALU_DEP_1)
	v_add_f64 v[47:48], v[93:94], -v[47:48]
	v_add_f64 v[4:5], v[47:48], v[4:5]
	v_mul_f64 v[47:48], v[227:228], s[26:27]
	s_delay_alu instid0(VALU_DEP_2) | instskip(SKIP_1) | instid1(VALU_DEP_1)
	v_add_f64 v[4:5], v[45:46], v[4:5]
	v_mul_f64 v[45:46], v[223:224], s[46:47]
	v_add_f64 v[14:15], v[14:15], -v[45:46]
	v_mul_f64 v[45:46], v[245:246], s[36:37]
	s_delay_alu instid0(VALU_DEP_1) | instskip(SKIP_3) | instid1(VALU_DEP_1)
	v_add_f64 v[45:46], v[45:46], v[122:123]
	s_waitcnt vmcnt(0)
	v_add_f64 v[53:54], v[53:54], v[55:56]
	v_mul_f64 v[55:56], v[237:238], s[16:17]
	v_add_f64 v[55:56], v[55:56], v[91:92]
	s_delay_alu instid0(VALU_DEP_1) | instskip(SKIP_2) | instid1(VALU_DEP_1)
	v_add_f64 v[6:7], v[55:56], v[6:7]
	scratch_load_b64 v[55:56], off, off offset:536 ; 8-byte Folded Reload
	v_add_f64 v[6:7], v[53:54], v[6:7]
	v_add_f64 v[6:7], v[51:52], v[6:7]
	v_mul_f64 v[51:52], v[253:254], s[26:27]
	s_waitcnt vmcnt(0)
	v_add_f64 v[47:48], v[47:48], v[55:56]
	v_mul_f64 v[55:56], v[209:210], s[50:51]
	s_delay_alu instid0(VALU_DEP_2) | instskip(NEXT) | instid1(VALU_DEP_2)
	v_add_f64 v[47:48], v[47:48], v[6:7]
	v_add_f64 v[55:56], v[55:56], v[75:76]
	s_delay_alu instid0(VALU_DEP_1) | instskip(SKIP_2) | instid1(VALU_DEP_1)
	v_add_f64 v[10:11], v[55:56], v[10:11]
	scratch_load_b64 v[55:56], off, off offset:528 ; 8-byte Folded Reload
	v_add_f64 v[61:62], v[79:80], -v[61:62]
	v_add_f64 v[4:5], v[61:62], v[4:5]
	scratch_load_b64 v[61:62], off, off offset:488 ; 8-byte Folded Reload
	v_add_f64 v[4:5], v[49:50], v[4:5]
	v_mul_f64 v[49:50], v[197:198], s[30:31]
	s_delay_alu instid0(VALU_DEP_2) | instskip(SKIP_2) | instid1(VALU_DEP_4)
	v_add_f64 v[6:7], v[14:15], v[4:5]
	v_add_f64 v[4:5], v[45:46], v[47:48]
	v_mul_f64 v[47:48], v[225:226], s[52:53]
	v_add_f64 v[49:50], v[69:70], -v[49:50]
	scratch_load_b64 v[45:46], off, off offset:440 ; 8-byte Folded Reload
	v_mul_f64 v[14:15], v[219:220], s[28:29]
	v_add_f64 v[47:48], v[77:78], -v[47:48]
	v_add_f64 v[8:9], v[49:50], v[8:9]
	v_mul_f64 v[49:50], v[235:236], s[2:3]
	s_delay_alu instid0(VALU_DEP_2) | instskip(NEXT) | instid1(VALU_DEP_2)
	v_add_f64 v[8:9], v[47:48], v[8:9]
	v_add_f64 v[49:50], v[49:50], v[57:58]
	v_mul_f64 v[47:48], v[249:250], s[44:45]
	v_mul_f64 v[57:58], v[193:194], s[26:27]
	s_delay_alu instid0(VALU_DEP_1) | instskip(NEXT) | instid1(VALU_DEP_1)
	v_add_f64 v[57:58], v[57:58], v[63:64]
	v_add_f64 v[19:20], v[57:58], v[19:20]
	s_clause 0x1
	scratch_load_b64 v[57:58], off, off offset:464
	scratch_load_b64 v[53:54], off, off offset:432
	s_waitcnt vmcnt(4)
	v_add_f64 v[47:48], v[55:56], -v[47:48]
	v_mul_f64 v[55:56], v[209:210], s[8:9]
	s_delay_alu instid0(VALU_DEP_1) | instskip(NEXT) | instid1(VALU_DEP_1)
	v_add_f64 v[55:56], v[55:56], v[71:72]
	v_add_f64 v[19:20], v[55:56], v[19:20]
	scratch_load_b64 v[55:56], off, off offset:512 ; 8-byte Folded Reload
	s_waitcnt vmcnt(4)
	v_add_f64 v[59:60], v[61:62], -v[59:60]
	scratch_load_b64 v[61:62], off, off offset:472 ; 8-byte Folded Reload
	s_waitcnt vmcnt(4)
	v_add_f64 v[14:15], v[45:46], -v[14:15]
	v_mul_f64 v[45:46], v[241:242], s[38:39]
	s_delay_alu instid0(VALU_DEP_1) | instskip(NEXT) | instid1(VALU_DEP_1)
	v_add_f64 v[45:46], v[89:90], -v[45:46]
	v_add_f64 v[8:9], v[45:46], v[8:9]
	v_mul_f64 v[45:46], v[227:228], s[40:41]
	s_delay_alu instid0(VALU_DEP_2) | instskip(SKIP_1) | instid1(VALU_DEP_2)
	v_add_f64 v[8:9], v[14:15], v[8:9]
	v_mul_f64 v[14:15], v[223:224], s[22:23]
	v_add_f64 v[8:9], v[59:60], v[8:9]
	s_delay_alu instid0(VALU_DEP_2)
	v_add_f64 v[14:15], v[120:121], -v[14:15]
	v_mul_f64 v[59:60], v[247:248], s[24:25]
	s_waitcnt vmcnt(2)
	v_add_f64 v[51:52], v[51:52], v[53:54]
	v_mul_f64 v[53:54], v[237:238], s[36:37]
	v_add_f64 v[8:9], v[47:48], v[8:9]
	v_mul_f64 v[47:48], v[225:226], s[42:43]
	s_delay_alu instid0(VALU_DEP_3) | instskip(NEXT) | instid1(VALU_DEP_2)
	v_add_f64 v[53:54], v[53:54], v[87:88]
	v_add_f64 v[47:48], v[73:74], -v[47:48]
	s_delay_alu instid0(VALU_DEP_2)
	v_add_f64 v[10:11], v[53:54], v[10:11]
	scratch_load_b64 v[53:54], off, off offset:520 ; 8-byte Folded Reload
	v_add_f64 v[10:11], v[51:52], v[10:11]
	v_mul_f64 v[51:52], v[253:254], s[36:37]
	s_waitcnt vmcnt(1)
	v_add_f64 v[59:60], v[61:62], -v[59:60]
	s_delay_alu instid0(VALU_DEP_3) | instskip(SKIP_1) | instid1(VALU_DEP_4)
	v_add_f64 v[10:11], v[49:50], v[10:11]
	v_mul_f64 v[49:50], v[245:246], s[10:11]
	v_add_f64 v[51:52], v[51:52], v[95:96]
	s_delay_alu instid0(VALU_DEP_2) | instskip(SKIP_3) | instid1(VALU_DEP_2)
	v_add_f64 v[49:50], v[49:50], v[118:119]
	s_waitcnt vmcnt(0)
	v_add_f64 v[45:46], v[45:46], v[53:54]
	v_mul_f64 v[53:54], v[237:238], s[40:41]
	v_add_f64 v[45:46], v[45:46], v[10:11]
	v_add_f64 v[10:11], v[14:15], v[8:9]
	v_mul_f64 v[14:15], v[219:220], s[38:39]
	s_delay_alu instid0(VALU_DEP_4) | instskip(NEXT) | instid1(VALU_DEP_4)
	v_add_f64 v[53:54], v[53:54], v[83:84]
	v_add_f64 v[8:9], v[49:50], v[45:46]
	v_mul_f64 v[49:50], v[197:198], s[28:29]
	v_mul_f64 v[45:46], v[241:242], s[48:49]
	v_add_f64 v[14:15], v[97:98], -v[14:15]
	v_add_f64 v[19:20], v[53:54], v[19:20]
	s_delay_alu instid0(VALU_DEP_4) | instskip(NEXT) | instid1(VALU_DEP_4)
	v_add_f64 v[49:50], v[65:66], -v[49:50]
	v_add_f64 v[45:46], v[85:86], -v[45:46]
	s_delay_alu instid0(VALU_DEP_2) | instskip(SKIP_1) | instid1(VALU_DEP_2)
	v_add_f64 v[17:18], v[49:50], v[17:18]
	v_mul_f64 v[49:50], v[235:236], s[16:17]
	v_add_f64 v[17:18], v[47:48], v[17:18]
	v_mul_f64 v[47:48], v[249:250], s[58:59]
	s_delay_alu instid0(VALU_DEP_3) | instskip(NEXT) | instid1(VALU_DEP_3)
	v_add_f64 v[49:50], v[49:50], v[57:58]
	v_add_f64 v[17:18], v[45:46], v[17:18]
	s_delay_alu instid0(VALU_DEP_3) | instskip(SKIP_1) | instid1(VALU_DEP_3)
	v_add_f64 v[47:48], v[55:56], -v[47:48]
	v_mul_f64 v[45:46], v[227:228], s[10:11]
	v_add_f64 v[14:15], v[14:15], v[17:18]
	v_add_f64 v[17:18], v[51:52], v[19:20]
	v_mul_f64 v[19:20], v[223:224], s[52:53]
	s_delay_alu instid0(VALU_DEP_4) | instskip(NEXT) | instid1(VALU_DEP_4)
	v_add_f64 v[45:46], v[45:46], v[108:109]
	v_add_f64 v[14:15], v[59:60], v[14:15]
	s_delay_alu instid0(VALU_DEP_4) | instskip(NEXT) | instid1(VALU_DEP_4)
	v_add_f64 v[17:18], v[49:50], v[17:18]
	v_add_f64 v[19:20], v[116:117], -v[19:20]
	v_mul_f64 v[49:50], v[245:246], s[50:51]
	s_delay_alu instid0(VALU_DEP_4) | instskip(NEXT) | instid1(VALU_DEP_4)
	v_add_f64 v[14:15], v[47:48], v[14:15]
	v_add_f64 v[17:18], v[45:46], v[17:18]
	s_delay_alu instid0(VALU_DEP_3) | instskip(NEXT) | instid1(VALU_DEP_3)
	v_add_f64 v[49:50], v[49:50], v[110:111]
	v_add_f64 v[110:111], v[19:20], v[14:15]
	v_mul_f64 v[14:15], v[197:198], s[18:19]
	v_mul_f64 v[19:20], v[207:208], s[18:19]
	s_delay_alu instid0(VALU_DEP_4) | instskip(NEXT) | instid1(VALU_DEP_3)
	v_add_f64 v[108:109], v[49:50], v[17:18]
	v_fma_f64 v[17:18], v[195:196], s[2:3], -v[14:15]
	v_fma_f64 v[14:15], v[195:196], s[2:3], v[14:15]
	s_delay_alu instid0(VALU_DEP_2) | instskip(SKIP_1) | instid1(VALU_DEP_3)
	v_add_f64 v[17:18], v[17:18], v[23:24]
	v_fma_f64 v[23:24], v[193:194], s[2:3], v[19:20]
	v_add_f64 v[14:15], v[14:15], v[29:30]
	v_fma_f64 v[19:20], v[193:194], s[2:3], -v[19:20]
	s_delay_alu instid0(VALU_DEP_3) | instskip(SKIP_1) | instid1(VALU_DEP_3)
	v_add_f64 v[23:24], v[23:24], v[35:36]
	v_mul_f64 v[35:36], v[225:226], s[22:23]
	v_add_f64 v[19:20], v[19:20], v[41:42]
	s_delay_alu instid0(VALU_DEP_2) | instskip(NEXT) | instid1(VALU_DEP_1)
	v_fma_f64 v[45:46], v[211:212], s[10:11], -v[35:36]
	v_add_f64 v[17:18], v[45:46], v[17:18]
	v_mul_f64 v[45:46], v[231:232], s[22:23]
	s_delay_alu instid0(VALU_DEP_1) | instskip(NEXT) | instid1(VALU_DEP_1)
	v_fma_f64 v[47:48], v[209:210], s[10:11], v[45:46]
	v_add_f64 v[23:24], v[47:48], v[23:24]
	v_mul_f64 v[47:48], v[241:242], s[28:29]
	s_delay_alu instid0(VALU_DEP_1) | instskip(NEXT) | instid1(VALU_DEP_1)
	v_fma_f64 v[49:50], v[239:240], s[26:27], -v[47:48]
	v_add_f64 v[17:18], v[49:50], v[17:18]
	v_mul_f64 v[49:50], v[251:252], s[28:29]
	s_delay_alu instid0(VALU_DEP_1) | instskip(NEXT) | instid1(VALU_DEP_1)
	v_fma_f64 v[51:52], v[237:238], s[26:27], v[49:50]
	v_add_f64 v[23:24], v[51:52], v[23:24]
	v_mul_f64 v[51:52], v[219:220], s[30:31]
	s_delay_alu instid0(VALU_DEP_1) | instskip(NEXT) | instid1(VALU_DEP_1)
	v_fma_f64 v[53:54], v[213:214], s[16:17], -v[51:52]
	v_add_f64 v[17:18], v[53:54], v[17:18]
	v_mul_f64 v[53:54], v[233:234], s[30:31]
	s_delay_alu instid0(VALU_DEP_1) | instskip(NEXT) | instid1(VALU_DEP_1)
	v_fma_f64 v[55:56], v[253:254], s[16:17], v[53:54]
	v_add_f64 v[23:24], v[55:56], v[23:24]
	v_mul_f64 v[55:56], v[247:248], s[42:43]
	s_delay_alu instid0(VALU_DEP_1) | instskip(NEXT) | instid1(VALU_DEP_1)
	v_fma_f64 v[57:58], v[243:244], s[8:9], -v[55:56]
	v_add_f64 v[17:18], v[57:58], v[17:18]
	v_mul_f64 v[57:58], v[221:222], s[42:43]
	s_delay_alu instid0(VALU_DEP_1) | instskip(NEXT) | instid1(VALU_DEP_1)
	v_fma_f64 v[59:60], v[235:236], s[8:9], v[57:58]
	v_add_f64 v[23:24], v[59:60], v[23:24]
	v_mul_f64 v[59:60], v[249:250], s[46:47]
	s_delay_alu instid0(VALU_DEP_1) | instskip(NEXT) | instid1(VALU_DEP_1)
	v_fma_f64 v[61:62], v[229:230], s[36:37], -v[59:60]
	v_add_f64 v[17:18], v[61:62], v[17:18]
	v_mul_f64 v[61:62], v[215:216], s[46:47]
	s_delay_alu instid0(VALU_DEP_1) | instskip(NEXT) | instid1(VALU_DEP_1)
	v_fma_f64 v[63:64], v[227:228], s[36:37], v[61:62]
	v_add_f64 v[23:24], v[63:64], v[23:24]
	v_mul_f64 v[63:64], v[223:224], s[48:49]
	s_delay_alu instid0(VALU_DEP_1) | instskip(NEXT) | instid1(VALU_DEP_1)
	v_fma_f64 v[65:66], v[217:218], s[40:41], -v[63:64]
	v_add_f64 v[114:115], v[65:66], v[17:18]
	v_mul_f64 v[17:18], v[12:13], s[48:49]
	s_delay_alu instid0(VALU_DEP_1) | instskip(SKIP_1) | instid1(VALU_DEP_2)
	v_fma_f64 v[65:66], v[245:246], s[40:41], v[17:18]
	v_fma_f64 v[17:18], v[245:246], s[40:41], -v[17:18]
	v_add_f64 v[112:113], v[65:66], v[23:24]
	v_mul_f64 v[23:24], v[197:198], s[22:23]
	s_delay_alu instid0(VALU_DEP_1) | instskip(SKIP_1) | instid1(VALU_DEP_2)
	v_fma_f64 v[65:66], v[195:196], s[10:11], -v[23:24]
	v_fma_f64 v[23:24], v[195:196], s[10:11], v[23:24]
	v_add_f64 v[21:22], v[65:66], v[21:22]
	v_mul_f64 v[65:66], v[207:208], s[22:23]
	s_delay_alu instid0(VALU_DEP_3) | instskip(NEXT) | instid1(VALU_DEP_2)
	v_add_f64 v[23:24], v[23:24], v[27:28]
	v_fma_f64 v[67:68], v[193:194], s[10:11], v[65:66]
	v_fma_f64 v[27:28], v[193:194], s[10:11], -v[65:66]
	s_delay_alu instid0(VALU_DEP_2) | instskip(SKIP_1) | instid1(VALU_DEP_3)
	v_add_f64 v[33:34], v[67:68], v[33:34]
	v_mul_f64 v[67:68], v[225:226], s[34:35]
	v_add_f64 v[27:28], v[27:28], v[39:40]
	s_delay_alu instid0(VALU_DEP_2) | instskip(NEXT) | instid1(VALU_DEP_1)
	v_fma_f64 v[69:70], v[211:212], s[26:27], -v[67:68]
	v_add_f64 v[21:22], v[69:70], v[21:22]
	v_mul_f64 v[69:70], v[231:232], s[34:35]
	s_delay_alu instid0(VALU_DEP_1) | instskip(NEXT) | instid1(VALU_DEP_1)
	v_fma_f64 v[71:72], v[209:210], s[26:27], v[69:70]
	v_add_f64 v[33:34], v[71:72], v[33:34]
	v_mul_f64 v[71:72], v[241:242], s[42:43]
	s_delay_alu instid0(VALU_DEP_1) | instskip(NEXT) | instid1(VALU_DEP_1)
	v_fma_f64 v[73:74], v[239:240], s[8:9], -v[71:72]
	v_add_f64 v[21:22], v[73:74], v[21:22]
	v_mul_f64 v[73:74], v[251:252], s[42:43]
	s_delay_alu instid0(VALU_DEP_1) | instskip(NEXT) | instid1(VALU_DEP_1)
	v_fma_f64 v[75:76], v[237:238], s[8:9], v[73:74]
	v_add_f64 v[33:34], v[75:76], v[33:34]
	v_mul_f64 v[75:76], v[219:220], s[52:53]
	s_delay_alu instid0(VALU_DEP_1) | instskip(NEXT) | instid1(VALU_DEP_1)
	;; [unrolled: 8-line block ×5, first 2 shown]
	v_fma_f64 v[89:90], v[217:218], s[16:17], -v[87:88]
	v_add_f64 v[118:119], v[89:90], v[21:22]
	v_mul_f64 v[21:22], v[12:13], s[24:25]
	s_delay_alu instid0(VALU_DEP_1) | instskip(SKIP_1) | instid1(VALU_DEP_2)
	v_fma_f64 v[89:90], v[245:246], s[16:17], v[21:22]
	v_fma_f64 v[21:22], v[245:246], s[16:17], -v[21:22]
	v_add_f64 v[116:117], v[89:90], v[33:34]
	v_fma_f64 v[33:34], v[211:212], s[26:27], v[67:68]
	s_delay_alu instid0(VALU_DEP_1) | instskip(SKIP_1) | instid1(VALU_DEP_1)
	v_add_f64 v[23:24], v[33:34], v[23:24]
	v_fma_f64 v[33:34], v[209:210], s[26:27], -v[69:70]
	v_add_f64 v[27:28], v[33:34], v[27:28]
	v_fma_f64 v[33:34], v[239:240], s[8:9], v[71:72]
	s_delay_alu instid0(VALU_DEP_1) | instskip(SKIP_1) | instid1(VALU_DEP_1)
	v_add_f64 v[23:24], v[33:34], v[23:24]
	;; [unrolled: 5-line block ×5, first 2 shown]
	v_fma_f64 v[33:34], v[227:228], s[2:3], -v[85:86]
	v_add_f64 v[27:28], v[33:34], v[27:28]
	v_fma_f64 v[33:34], v[217:218], s[16:17], v[87:88]
	s_delay_alu instid0(VALU_DEP_2) | instskip(SKIP_1) | instid1(VALU_DEP_3)
	v_add_f64 v[120:121], v[21:22], v[27:28]
	v_fma_f64 v[21:22], v[211:212], s[10:11], v[35:36]
	v_add_f64 v[122:123], v[33:34], v[23:24]
	v_mul_f64 v[23:24], v[225:226], s[38:39]
	s_delay_alu instid0(VALU_DEP_3) | instskip(SKIP_1) | instid1(VALU_DEP_1)
	v_add_f64 v[14:15], v[21:22], v[14:15]
	v_fma_f64 v[21:22], v[209:210], s[10:11], -v[45:46]
	v_add_f64 v[19:20], v[21:22], v[19:20]
	v_fma_f64 v[21:22], v[239:240], s[26:27], v[47:48]
	s_delay_alu instid0(VALU_DEP_1) | instskip(SKIP_2) | instid1(VALU_DEP_2)
	v_add_f64 v[14:15], v[21:22], v[14:15]
	v_fma_f64 v[21:22], v[237:238], s[26:27], -v[49:50]
	v_mul_f64 v[49:50], v[12:13], s[28:29]
	v_add_f64 v[19:20], v[21:22], v[19:20]
	v_fma_f64 v[21:22], v[213:214], s[16:17], v[51:52]
	s_delay_alu instid0(VALU_DEP_1) | instskip(SKIP_1) | instid1(VALU_DEP_1)
	v_add_f64 v[14:15], v[21:22], v[14:15]
	v_fma_f64 v[21:22], v[253:254], s[16:17], -v[53:54]
	v_add_f64 v[19:20], v[21:22], v[19:20]
	v_fma_f64 v[21:22], v[243:244], s[8:9], v[55:56]
	s_delay_alu instid0(VALU_DEP_1) | instskip(SKIP_1) | instid1(VALU_DEP_1)
	v_add_f64 v[14:15], v[21:22], v[14:15]
	v_fma_f64 v[21:22], v[235:236], s[8:9], -v[57:58]
	;; [unrolled: 5-line block ×3, first 2 shown]
	v_add_f64 v[19:20], v[21:22], v[19:20]
	v_fma_f64 v[21:22], v[217:218], s[40:41], v[63:64]
	s_delay_alu instid0(VALU_DEP_2) | instskip(SKIP_1) | instid1(VALU_DEP_3)
	v_add_f64 v[124:125], v[17:18], v[19:20]
	v_mul_f64 v[17:18], v[197:198], s[56:57]
	v_add_f64 v[126:127], v[21:22], v[14:15]
	v_mul_f64 v[19:20], v[207:208], s[56:57]
	s_delay_alu instid0(VALU_DEP_3) | instskip(SKIP_1) | instid1(VALU_DEP_3)
	v_fma_f64 v[14:15], v[195:196], s[50:51], -v[17:18]
	v_fma_f64 v[17:18], v[195:196], s[50:51], v[17:18]
	v_fma_f64 v[21:22], v[193:194], s[50:51], v[19:20]
	v_fma_f64 v[19:20], v[193:194], s[50:51], -v[19:20]
	s_delay_alu instid0(VALU_DEP_4) | instskip(SKIP_1) | instid1(VALU_DEP_4)
	v_add_f64 v[14:15], v[14:15], v[25:26]
	v_fma_f64 v[25:26], v[211:212], s[36:37], -v[23:24]
	v_add_f64 v[21:22], v[21:22], v[37:38]
	v_add_f64 v[17:18], v[17:18], v[31:32]
	;; [unrolled: 1-line block ×3, first 2 shown]
	s_delay_alu instid0(VALU_DEP_4) | instskip(SKIP_1) | instid1(VALU_DEP_1)
	v_add_f64 v[14:15], v[25:26], v[14:15]
	v_mul_f64 v[25:26], v[231:232], s[38:39]
	v_fma_f64 v[27:28], v[209:210], s[36:37], v[25:26]
	s_delay_alu instid0(VALU_DEP_1) | instskip(SKIP_1) | instid1(VALU_DEP_1)
	v_add_f64 v[21:22], v[27:28], v[21:22]
	v_mul_f64 v[27:28], v[241:242], s[18:19]
	v_fma_f64 v[29:30], v[239:240], s[2:3], -v[27:28]
	s_delay_alu instid0(VALU_DEP_1) | instskip(SKIP_1) | instid1(VALU_DEP_1)
	v_add_f64 v[14:15], v[29:30], v[14:15]
	v_mul_f64 v[29:30], v[251:252], s[18:19]
	v_fma_f64 v[33:34], v[237:238], s[2:3], v[29:30]
	s_delay_alu instid0(VALU_DEP_1) | instskip(SKIP_1) | instid1(VALU_DEP_1)
	v_add_f64 v[21:22], v[33:34], v[21:22]
	v_mul_f64 v[33:34], v[219:220], s[20:21]
	v_fma_f64 v[35:36], v[213:214], s[8:9], -v[33:34]
	s_delay_alu instid0(VALU_DEP_1) | instskip(SKIP_1) | instid1(VALU_DEP_1)
	;; [unrolled: 8-line block ×5, first 2 shown]
	v_add_f64 v[14:15], v[12:13], v[14:15]
	v_fma_f64 v[12:13], v[245:246], s[26:27], v[49:50]
	v_add_f64 v[12:13], v[12:13], v[21:22]
	v_fma_f64 v[21:22], v[211:212], s[36:37], v[23:24]
	v_fma_f64 v[23:24], v[209:210], s[36:37], -v[25:26]
	v_fma_f64 v[25:26], v[239:240], s[2:3], v[27:28]
	v_fma_f64 v[27:28], v[237:238], s[2:3], -v[29:30]
	s_delay_alu instid0(VALU_DEP_4) | instskip(SKIP_3) | instid1(VALU_DEP_4)
	v_add_f64 v[17:18], v[21:22], v[17:18]
	v_fma_f64 v[21:22], v[213:214], s[8:9], v[33:34]
	v_add_f64 v[19:20], v[23:24], v[19:20]
	v_fma_f64 v[23:24], v[253:254], s[8:9], -v[35:36]
	v_add_f64 v[17:18], v[25:26], v[17:18]
	v_fma_f64 v[25:26], v[243:244], s[10:11], v[37:38]
	s_delay_alu instid0(VALU_DEP_4) | instskip(SKIP_1) | instid1(VALU_DEP_4)
	v_add_f64 v[19:20], v[27:28], v[19:20]
	v_fma_f64 v[27:28], v[235:236], s[10:11], -v[39:40]
	v_add_f64 v[17:18], v[21:22], v[17:18]
	v_fma_f64 v[21:22], v[229:230], s[16:17], v[41:42]
	s_delay_alu instid0(VALU_DEP_4) | instskip(SKIP_1) | instid1(VALU_DEP_4)
	;; [unrolled: 5-line block ×3, first 2 shown]
	v_add_f64 v[19:20], v[27:28], v[19:20]
	v_fma_f64 v[27:28], v[245:246], s[26:27], -v[49:50]
	v_add_f64 v[17:18], v[21:22], v[17:18]
	s_delay_alu instid0(VALU_DEP_3) | instskip(NEXT) | instid1(VALU_DEP_2)
	v_add_f64 v[19:20], v[23:24], v[19:20]
	v_add_f64 v[130:131], v[25:26], v[17:18]
	scratch_load_b32 v17, off, off offset:332 ; 4-byte Folded Reload
	v_add_f64 v[128:129], v[27:28], v[19:20]
	s_waitcnt vmcnt(0)
	v_and_b32_e32 v17, 0xffff, v17
	s_delay_alu instid0(VALU_DEP_1)
	v_lshlrev_b32_e32 v17, 4, v17
	ds_store_b128 v17, v[112:115] offset:32
	ds_store_b128 v17, v[116:119] offset:48
	;; [unrolled: 1-line block ×15, first 2 shown]
	ds_store_b128 v17, v[0:3]
	ds_store_b128 v17, v[128:131] offset:256
.LBB0_17:
	s_or_b32 exec_lo, exec_lo, s1
	s_waitcnt lgkmcnt(0)
	s_barrier
	buffer_gl0_inv
	ds_load_b128 v[0:3], v255
	ds_load_b128 v[116:119], v255 offset:3536
	ds_load_b128 v[112:115], v255 offset:7072
	;; [unrolled: 1-line block ×6, first 2 shown]
	s_and_saveexec_b32 s1, s0
	s_cbranch_execz .LBB0_19
; %bb.18:
	ds_load_b128 v[176:179], v255 offset:1904
	ds_load_b128 v[184:187], v255 offset:5440
	;; [unrolled: 1-line block ×7, first 2 shown]
.LBB0_19:
	s_or_b32 exec_lo, exec_lo, s1
	s_clause 0x3
	scratch_load_b128 v[41:44], off, off offset:100
	scratch_load_b128 v[37:40], off, off offset:68
	;; [unrolled: 1-line block ×4, first 2 shown]
	s_mov_b32 s8, 0x37e14327
	s_mov_b32 s16, 0xe976ee23
	s_mov_b32 s9, 0x3fe948f6
	s_mov_b32 s17, 0x3fe11646
	s_mov_b32 s2, 0x429ad128
	s_mov_b32 s3, 0xbfebfeb5
	s_mov_b32 s20, 0x36b3c0b5
	s_mov_b32 s21, 0x3fac98ee
	s_mov_b32 s10, 0xaaaaaaaa
	s_mov_b32 s24, 0xb247c609
	s_mov_b32 s11, 0xbff2aaaa
	s_mov_b32 s18, 0x5476071b
	s_mov_b32 s25, 0xbfd5d0dc
	s_mov_b32 s19, 0x3fe77f67
	s_mov_b32 s23, 0xbfe77f67
	s_mov_b32 s27, 0x3fd5d0dc
	s_mov_b32 s22, s18
	s_mov_b32 s26, s24
	s_mov_b32 s28, 0x37c3f68c
	s_mov_b32 s29, 0xbfdc38aa
	s_waitcnt vmcnt(3) lgkmcnt(4)
	v_mul_f64 v[17:18], v[43:44], v[114:115]
	v_mul_f64 v[19:20], v[43:44], v[112:113]
	scratch_load_b128 v[43:46], off, off offset:116 ; 16-byte Folded Reload
	s_waitcnt vmcnt(2)
	v_mul_f64 v[12:13], v[49:50], v[118:119]
	v_mul_f64 v[14:15], v[49:50], v[116:117]
	scratch_load_b128 v[49:52], off, off offset:204 ; 16-byte Folded Reload
	s_waitcnt lgkmcnt(1)
	v_mul_f64 v[25:26], v[39:40], v[110:111]
	v_mul_f64 v[27:28], v[39:40], v[108:109]
	s_waitcnt vmcnt(2)
	v_mul_f64 v[29:30], v[55:56], v[10:11]
	v_mul_f64 v[31:32], v[55:56], v[8:9]
	s_waitcnt vmcnt(0) lgkmcnt(0)
	s_barrier
	buffer_gl0_inv
	v_fma_f64 v[17:18], v[41:42], v[112:113], v[17:18]
	v_fma_f64 v[19:20], v[41:42], v[114:115], -v[19:20]
	v_fma_f64 v[12:13], v[47:48], v[116:117], v[12:13]
	v_fma_f64 v[14:15], v[47:48], v[118:119], -v[14:15]
	;; [unrolled: 2-line block ×4, first 2 shown]
	v_mul_f64 v[21:22], v[45:46], v[122:123]
	v_mul_f64 v[23:24], v[45:46], v[120:121]
	;; [unrolled: 1-line block ×4, first 2 shown]
	s_delay_alu instid0(VALU_DEP_4) | instskip(NEXT) | instid1(VALU_DEP_4)
	v_fma_f64 v[21:22], v[43:44], v[120:121], v[21:22]
	v_fma_f64 v[23:24], v[43:44], v[122:123], -v[23:24]
	s_delay_alu instid0(VALU_DEP_4) | instskip(NEXT) | instid1(VALU_DEP_4)
	v_fma_f64 v[4:5], v[49:50], v[4:5], v[33:34]
	v_fma_f64 v[6:7], v[49:50], v[6:7], -v[35:36]
	v_add_f64 v[33:34], v[17:18], v[25:26]
	v_add_f64 v[35:36], v[19:20], v[27:28]
	v_add_f64 v[17:18], v[17:18], -v[25:26]
	v_add_f64 v[19:20], v[19:20], -v[27:28]
	v_add_f64 v[29:30], v[12:13], v[21:22]
	v_add_f64 v[31:32], v[14:15], v[23:24]
	v_add_f64 v[25:26], v[8:9], v[4:5]
	v_add_f64 v[27:28], v[10:11], v[6:7]
	v_add_f64 v[4:5], v[4:5], -v[8:9]
	v_add_f64 v[6:7], v[6:7], -v[10:11]
	;; [unrolled: 1-line block ×4, first 2 shown]
	v_add_f64 v[12:13], v[33:34], v[29:30]
	v_add_f64 v[14:15], v[35:36], v[31:32]
	v_add_f64 v[21:22], v[29:30], -v[25:26]
	v_add_f64 v[23:24], v[31:32], -v[27:28]
	;; [unrolled: 1-line block ×6, first 2 shown]
	v_add_f64 v[17:18], v[4:5], v[17:18]
	v_add_f64 v[19:20], v[6:7], v[19:20]
	v_add_f64 v[4:5], v[8:9], -v[4:5]
	v_add_f64 v[6:7], v[10:11], -v[6:7]
	;; [unrolled: 1-line block ×4, first 2 shown]
	v_add_f64 v[12:13], v[25:26], v[12:13]
	v_add_f64 v[14:15], v[27:28], v[14:15]
	v_add_f64 v[25:26], v[25:26], -v[33:34]
	v_add_f64 v[27:28], v[27:28], -v[35:36]
	v_mul_f64 v[21:22], v[21:22], s[8:9]
	v_mul_f64 v[23:24], v[23:24], s[8:9]
	;; [unrolled: 1-line block ×6, first 2 shown]
	v_add_f64 v[8:9], v[17:18], v[8:9]
	v_add_f64 v[10:11], v[19:20], v[10:11]
	;; [unrolled: 1-line block ×4, first 2 shown]
	v_mul_f64 v[33:34], v[25:26], s[20:21]
	v_mul_f64 v[35:36], v[27:28], s[20:21]
	v_fma_f64 v[17:18], v[25:26], s[20:21], v[21:22]
	v_fma_f64 v[19:20], v[27:28], s[20:21], v[23:24]
	;; [unrolled: 1-line block ×4, first 2 shown]
	v_fma_f64 v[39:40], v[43:44], s[2:3], -v[39:40]
	v_fma_f64 v[4:5], v[4:5], s[26:27], -v[45:46]
	;; [unrolled: 1-line block ×6, first 2 shown]
	v_fma_f64 v[12:13], v[12:13], s[10:11], v[0:1]
	v_fma_f64 v[14:15], v[14:15], s[10:11], v[2:3]
	v_fma_f64 v[29:30], v[29:30], s[18:19], -v[33:34]
	v_fma_f64 v[31:32], v[31:32], s[18:19], -v[35:36]
	v_fma_f64 v[25:26], v[8:9], s[28:29], v[25:26]
	v_fma_f64 v[27:28], v[10:11], s[28:29], v[27:28]
	;; [unrolled: 1-line block ×6, first 2 shown]
	v_add_f64 v[17:18], v[17:18], v[12:13]
	v_add_f64 v[19:20], v[19:20], v[14:15]
	;; [unrolled: 1-line block ×7, first 2 shown]
	v_add_f64 v[6:7], v[19:20], -v[25:26]
	v_add_f64 v[8:9], v[42:43], v[21:22]
	v_add_f64 v[10:11], v[23:24], -v[40:41]
	v_add_f64 v[12:13], v[29:30], -v[35:36]
	v_add_f64 v[14:15], v[33:34], v[31:32]
	v_add_f64 v[36:37], v[35:36], v[29:30]
	v_add_f64 v[38:39], v[31:32], -v[33:34]
	v_add_f64 v[44:45], v[21:22], -v[42:43]
	v_add_f64 v[46:47], v[40:41], v[23:24]
	v_add_f64 v[48:49], v[17:18], -v[27:28]
	v_add_f64 v[50:51], v[25:26], v[19:20]
	ds_store_b128 v16, v[0:3]
	ds_store_b128 v16, v[4:7] offset:272
	ds_store_b128 v16, v[8:11] offset:544
	;; [unrolled: 1-line block ×6, first 2 shown]
	s_and_saveexec_b32 s1, s0
	s_cbranch_execz .LBB0_21
; %bb.20:
	s_clause 0x4
	scratch_load_b128 v[32:35], off, off offset:368
	scratch_load_b128 v[38:41], off, off offset:400
	;; [unrolled: 1-line block ×5, first 2 shown]
	s_waitcnt vmcnt(4)
	v_mul_f64 v[0:1], v[34:35], v[164:165]
	v_mul_f64 v[10:11], v[34:35], v[166:167]
	scratch_load_b128 v[34:37], off, off offset:384 ; 16-byte Folded Reload
	s_waitcnt vmcnt(3)
	v_mul_f64 v[2:3], v[30:31], v[184:185]
	s_waitcnt vmcnt(1)
	v_mul_f64 v[4:5], v[44:45], v[168:169]
	v_mul_f64 v[6:7], v[26:27], v[188:189]
	;; [unrolled: 1-line block ×7, first 2 shown]
	v_fma_f64 v[0:1], v[32:33], v[166:167], -v[0:1]
	v_fma_f64 v[10:11], v[32:33], v[164:165], v[10:11]
	v_fma_f64 v[2:3], v[28:29], v[186:187], -v[2:3]
	v_fma_f64 v[4:5], v[42:43], v[170:171], -v[4:5]
	;; [unrolled: 1-line block ×3, first 2 shown]
	v_fma_f64 v[8:9], v[28:29], v[184:185], v[8:9]
	v_fma_f64 v[12:13], v[24:25], v[188:189], v[12:13]
	;; [unrolled: 1-line block ×4, first 2 shown]
	v_fma_f64 v[20:21], v[38:39], v[182:183], -v[20:21]
	v_add_f64 v[24:25], v[2:3], v[0:1]
	v_add_f64 v[26:27], v[6:7], v[4:5]
	;; [unrolled: 1-line block ×3, first 2 shown]
	v_add_f64 v[8:9], v[8:9], -v[10:11]
	v_add_f64 v[30:31], v[12:13], v[14:15]
	v_add_f64 v[12:13], v[12:13], -v[14:15]
	v_add_f64 v[4:5], v[6:7], -v[4:5]
	v_add_f64 v[6:7], v[2:3], -v[0:1]
	v_add_f64 v[10:11], v[26:27], v[24:25]
	v_add_f64 v[0:1], v[30:31], v[28:29]
	s_delay_alu instid0(VALU_DEP_3) | instskip(NEXT) | instid1(VALU_DEP_1)
	v_add_f64 v[38:39], v[4:5], -v[6:7]
	v_mul_f64 v[46:47], v[38:39], s[2:3]
	s_waitcnt vmcnt(0)
	v_mul_f64 v[16:17], v[36:37], v[174:175]
	v_mul_f64 v[22:23], v[36:37], v[172:173]
	s_delay_alu instid0(VALU_DEP_2) | instskip(NEXT) | instid1(VALU_DEP_2)
	v_fma_f64 v[16:17], v[34:35], v[172:173], v[16:17]
	v_fma_f64 v[22:23], v[34:35], v[174:175], -v[22:23]
	v_add_f64 v[34:35], v[12:13], -v[8:9]
	s_delay_alu instid0(VALU_DEP_3) | instskip(NEXT) | instid1(VALU_DEP_3)
	v_add_f64 v[32:33], v[16:17], -v[18:19]
	v_add_f64 v[14:15], v[20:21], v[22:23]
	v_add_f64 v[16:17], v[18:19], v[16:17]
	v_add_f64 v[18:19], v[22:23], -v[20:21]
	v_mul_f64 v[44:45], v[34:35], s[2:3]
	v_add_f64 v[2:3], v[32:33], -v[12:13]
	v_add_f64 v[20:21], v[24:25], -v[14:15]
	;; [unrolled: 1-line block ×3, first 2 shown]
	v_add_f64 v[10:11], v[14:15], v[10:11]
	v_add_f64 v[14:15], v[14:15], -v[26:27]
	v_add_f64 v[36:37], v[18:19], -v[4:5]
	v_add_f64 v[40:41], v[16:17], v[0:1]
	v_add_f64 v[16:17], v[16:17], -v[30:31]
	v_add_f64 v[42:43], v[8:9], -v[32:33]
	v_add_f64 v[12:13], v[32:33], v[12:13]
	v_add_f64 v[4:5], v[18:19], v[4:5]
	v_add_f64 v[18:19], v[6:7], -v[18:19]
	v_add_f64 v[24:25], v[26:27], -v[24:25]
	;; [unrolled: 1-line block ×3, first 2 shown]
	v_mul_f64 v[32:33], v[2:3], s[16:17]
	v_mul_f64 v[20:21], v[20:21], s[8:9]
	;; [unrolled: 1-line block ×3, first 2 shown]
	v_add_f64 v[2:3], v[178:179], v[10:11]
	v_mul_f64 v[26:27], v[14:15], s[20:21]
	v_mul_f64 v[36:37], v[36:37], s[16:17]
	v_add_f64 v[0:1], v[176:177], v[40:41]
	v_mul_f64 v[30:31], v[16:17], s[20:21]
	v_add_f64 v[8:9], v[12:13], v[8:9]
	v_add_f64 v[4:5], v[4:5], v[6:7]
	v_fma_f64 v[6:7], v[42:43], s[24:25], v[32:33]
	v_fma_f64 v[12:13], v[14:15], s[20:21], v[20:21]
	;; [unrolled: 1-line block ×3, first 2 shown]
	v_fma_f64 v[16:17], v[42:43], s[26:27], -v[44:45]
	v_fma_f64 v[32:33], v[34:35], s[2:3], -v[32:33]
	v_fma_f64 v[10:11], v[10:11], s[10:11], v[2:3]
	v_fma_f64 v[20:21], v[24:25], s[22:23], -v[20:21]
	v_fma_f64 v[24:25], v[24:25], s[18:19], -v[26:27]
	v_fma_f64 v[26:27], v[18:19], s[24:25], v[36:37]
	;; [unrolled: 3-line block ×4, first 2 shown]
	v_fma_f64 v[16:17], v[8:9], s[28:29], v[16:17]
	v_fma_f64 v[8:9], v[8:9], s[28:29], v[32:33]
	v_add_f64 v[12:13], v[12:13], v[10:11]
	v_add_f64 v[20:21], v[20:21], v[10:11]
	;; [unrolled: 1-line block ×3, first 2 shown]
	v_fma_f64 v[32:33], v[4:5], s[28:29], v[26:27]
	v_fma_f64 v[38:39], v[4:5], s[28:29], v[18:19]
	;; [unrolled: 1-line block ×3, first 2 shown]
	v_add_f64 v[34:35], v[14:15], v[36:37]
	v_add_f64 v[40:41], v[22:23], v[36:37]
	;; [unrolled: 1-line block ×5, first 2 shown]
	v_add_f64 v[22:23], v[20:21], -v[16:17]
	v_add_f64 v[26:27], v[12:13], -v[30:31]
	v_add_f64 v[14:15], v[24:25], -v[8:9]
	v_add_f64 v[18:19], v[8:9], v[24:25]
	v_add_f64 v[24:25], v[32:33], v[34:35]
	;; [unrolled: 1-line block ×3, first 2 shown]
	v_add_f64 v[16:17], v[28:29], -v[4:5]
	v_add_f64 v[12:13], v[4:5], v[28:29]
	s_clause 0x1
	scratch_load_b32 v28, off, off offset:148
	scratch_load_b32 v29, off, off offset:60
	v_add_f64 v[8:9], v[40:41], -v[38:39]
	v_add_f64 v[4:5], v[34:35], -v[32:33]
	s_waitcnt vmcnt(1)
	v_mul_u32_u24_e32 v28, 0x77, v28
	s_waitcnt vmcnt(0)
	s_delay_alu instid0(VALU_DEP_1)
	v_add_lshl_u32 v28, v28, v29, 4
	ds_store_b128 v28, v[0:3]
	ds_store_b128 v28, v[24:27] offset:272
	ds_store_b128 v28, v[20:23] offset:544
	;; [unrolled: 1-line block ×6, first 2 shown]
.LBB0_21:
	s_or_b32 exec_lo, exec_lo, s1
	s_waitcnt lgkmcnt(0)
	s_barrier
	buffer_gl0_inv
	ds_load_b128 v[4:7], v255 offset:1904
	ds_load_b128 v[10:13], v255 offset:22848
	ds_load_b128 v[14:17], v255 offset:3808
	ds_load_b128 v[18:21], v255 offset:20944
	ds_load_b128 v[0:3], v255
	ds_load_b128 v[22:25], v255 offset:5712
	scratch_load_b128 v[108:111], off, off offset:84 ; 16-byte Folded Reload
	ds_load_b128 v[26:29], v255 offset:19040
	ds_load_b128 v[30:33], v255 offset:7616
	;; [unrolled: 1-line block ×3, first 2 shown]
	s_mov_b32 s8, 0x4267c47c
	s_mov_b32 s10, 0xe00740e9
	s_mov_b32 s2, 0x42a4c3d2
	s_mov_b32 s16, 0x1ea71119
	s_mov_b32 s9, 0xbfddbe06
	s_mov_b32 s11, 0x3fec55a7
	s_mov_b32 s3, 0xbfea55e2
	s_mov_b32 s17, 0x3fe22d96
	s_mov_b32 s20, 0x66966769
	s_mov_b32 s22, 0xebaa3ed8
	s_mov_b32 s21, 0xbfefc445
	s_mov_b32 s23, 0x3fbedb7d
	s_mov_b32 s28, 0x2ef20147
	s_mov_b32 s30, 0xb2365da1
	s_mov_b32 s29, 0xbfedeba7
	s_mov_b32 s31, 0xbfd6b1d8
	s_mov_b32 s26, 0x24c2f84
	s_mov_b32 s38, 0xd0032e0c
	s_mov_b32 s27, 0xbfe5384d
	s_mov_b32 s39, 0xbfe7f3cc
	s_mov_b32 s42, 0x4bc48dbf
	s_mov_b32 s44, 0x93053d00
	s_mov_b32 s43, 0xbfcea1e5
	s_mov_b32 s45, 0xbfef11f4
	s_mov_b32 s1, 0x3fddbe06
	s_mov_b32 s19, 0x3fea55e2
	s_mov_b32 s0, s8
	s_mov_b32 s18, s2
	s_mov_b32 s25, 0x3fefc445
	s_mov_b32 s24, s20
	s_mov_b32 s35, 0x3fedeba7
	s_mov_b32 s41, 0x3fe5384d
	s_mov_b32 s34, s28
	s_mov_b32 s40, s26
	s_mov_b32 s37, 0x3fcea1e5
	s_mov_b32 s36, s42
	s_waitcnt vmcnt(0) lgkmcnt(8)
	v_mul_f64 v[8:9], v[110:111], v[6:7]
	v_mul_f64 v[38:39], v[110:111], v[4:5]
	scratch_load_b128 v[110:113], off, off offset:156 ; 16-byte Folded Reload
	ds_load_b128 v[42:45], v255 offset:11424
	ds_load_b128 v[46:49], v255 offset:13328
	;; [unrolled: 1-line block ×4, first 2 shown]
	s_clause 0x4
	scratch_load_b128 v[114:117], off, off offset:172
	scratch_load_b128 v[118:121], off, off offset:188
	;; [unrolled: 1-line block ×5, first 2 shown]
	s_waitcnt lgkmcnt(2)
	v_mul_f64 v[96:97], v[102:103], v[48:49]
	v_mul_f64 v[98:99], v[102:103], v[46:47]
	s_waitcnt lgkmcnt(1)
	v_mul_f64 v[90:91], v[106:107], v[52:53]
	v_mul_f64 v[92:93], v[106:107], v[50:51]
	v_fma_f64 v[102:103], v[108:109], v[4:5], v[8:9]
	v_fma_f64 v[38:39], v[108:109], v[6:7], -v[38:39]
	s_waitcnt vmcnt(5)
	v_mul_f64 v[40:41], v[112:113], v[10:11]
	v_mul_f64 v[62:63], v[112:113], v[12:13]
	s_waitcnt vmcnt(4)
	v_mul_f64 v[54:55], v[116:117], v[14:15]
	s_waitcnt vmcnt(3)
	v_mul_f64 v[56:57], v[120:121], v[18:19]
	v_mul_f64 v[66:67], v[120:121], v[20:21]
	scratch_load_b128 v[120:123], off, off offset:236 ; 16-byte Folded Reload
	s_waitcnt vmcnt(3)
	v_mul_f64 v[60:61], v[126:127], v[24:25]
	v_mul_f64 v[64:65], v[126:127], v[22:23]
	scratch_load_b128 v[126:129], off, off offset:268 ; 16-byte Folded Reload
	s_waitcnt vmcnt(3)
	v_mul_f64 v[74:75], v[132:133], v[28:29]
	v_mul_f64 v[76:77], v[132:133], v[26:27]
	scratch_load_b128 v[132:135], off, off offset:300 ; 16-byte Folded Reload
	v_mul_f64 v[58:59], v[116:117], v[16:17]
	s_waitcnt vmcnt(3)
	v_mul_f64 v[80:81], v[138:139], v[36:37]
	v_mul_f64 v[86:87], v[138:139], v[34:35]
	v_fma_f64 v[4:5], v[110:111], v[12:13], -v[40:41]
	v_fma_f64 v[6:7], v[110:111], v[10:11], v[62:63]
	v_fma_f64 v[40:41], v[114:115], v[16:17], -v[54:55]
	v_fma_f64 v[8:9], v[118:119], v[20:21], -v[56:57]
	;; [unrolled: 1-line block ×3, first 2 shown]
	v_fma_f64 v[10:11], v[118:119], v[18:19], v[66:67]
	v_fma_f64 v[56:57], v[124:125], v[22:23], v[60:61]
	;; [unrolled: 1-line block ×3, first 2 shown]
	v_fma_f64 v[12:13], v[130:131], v[28:29], -v[76:77]
	v_fma_f64 v[54:55], v[114:115], v[14:15], v[58:59]
	v_fma_f64 v[14:15], v[130:131], v[26:27], v[74:75]
	;; [unrolled: 1-line block ×3, first 2 shown]
	v_add_f64 v[46:47], v[2:3], v[38:39]
	v_fma_f64 v[58:59], v[124:125], v[24:25], -v[64:65]
	v_fma_f64 v[24:25], v[100:101], v[48:49], -v[98:99]
	v_add_f64 v[48:49], v[38:39], -v[4:5]
	v_add_f64 v[38:39], v[38:39], v[4:5]
	v_add_f64 v[60:61], v[102:103], v[6:7]
	v_add_f64 v[50:51], v[40:41], -v[8:9]
	v_add_f64 v[52:53], v[40:41], v[8:9]
	v_add_f64 v[62:63], v[102:103], -v[6:7]
	;; [unrolled: 2-line block ×4, first 2 shown]
	v_mul_f64 v[46:47], v[48:49], s[8:9]
	v_mul_f64 v[98:99], v[38:39], s[10:11]
	v_mul_f64 v[100:101], v[48:49], s[2:3]
	v_mul_f64 v[104:105], v[48:49], s[20:21]
	v_mul_f64 v[106:107], v[38:39], s[22:23]
	v_mul_f64 v[108:109], v[48:49], s[28:29]
	v_mul_f64 v[110:111], v[38:39], s[30:31]
	v_mul_f64 v[112:113], v[48:49], s[26:27]
	v_mul_f64 v[114:115], v[38:39], s[38:39]
	v_mul_f64 v[48:49], v[48:49], s[42:43]
	v_mul_f64 v[116:117], v[50:51], s[2:3]
	v_mul_f64 v[118:119], v[52:53], s[16:17]
	v_mul_f64 v[124:125], v[50:51], s[42:43]
	v_mul_f64 v[130:131], v[52:53], s[38:39]
	v_add_f64 v[40:41], v[40:41], v[58:59]
	v_mul_f64 v[140:141], v[74:75], s[42:43]
	v_mul_f64 v[144:145], v[74:75], s[34:35]
	;; [unrolled: 1-line block ×4, first 2 shown]
	v_fma_f64 v[184:185], v[60:61], s[10:11], v[46:47]
	v_fma_f64 v[186:187], v[62:63], s[0:1], v[98:99]
	v_fma_f64 v[98:99], v[62:63], s[8:9], v[98:99]
	v_fma_f64 v[188:189], v[60:61], s[16:17], v[100:101]
	v_fma_f64 v[46:47], v[60:61], s[10:11], -v[46:47]
	v_fma_f64 v[100:101], v[60:61], s[16:17], -v[100:101]
	v_fma_f64 v[192:193], v[60:61], s[22:23], v[104:105]
	v_fma_f64 v[194:195], v[62:63], s[24:25], v[106:107]
	v_fma_f64 v[104:105], v[60:61], s[22:23], -v[104:105]
	v_fma_f64 v[106:107], v[62:63], s[20:21], v[106:107]
	v_fma_f64 v[196:197], v[60:61], s[30:31], v[108:109]
	;; [unrolled: 1-line block ×4, first 2 shown]
	v_fma_f64 v[108:109], v[60:61], s[30:31], -v[108:109]
	v_fma_f64 v[114:115], v[62:63], s[26:27], v[114:115]
	v_fma_f64 v[208:209], v[64:65], s[44:45], v[124:125]
	v_fma_f64 v[124:125], v[64:65], s[44:45], -v[124:125]
	v_fma_f64 v[214:215], v[66:67], s[26:27], v[130:131]
	v_fma_f64 v[130:131], v[66:67], s[40:41], v[130:131]
	v_add_f64 v[184:185], v[0:1], v[184:185]
	v_add_f64 v[186:187], v[2:3], v[186:187]
	;; [unrolled: 1-line block ×18, first 2 shown]
	s_waitcnt vmcnt(2)
	v_mul_f64 v[72:73], v[122:123], v[32:33]
	v_mul_f64 v[78:79], v[122:123], v[30:31]
	;; [unrolled: 1-line block ×3, first 2 shown]
	s_waitcnt vmcnt(1) lgkmcnt(0)
	v_mul_f64 v[82:83], v[128:129], v[70:71]
	v_mul_f64 v[84:85], v[128:129], v[68:69]
	;; [unrolled: 1-line block ×3, first 2 shown]
	s_waitcnt vmcnt(0)
	v_mul_f64 v[88:89], v[134:135], v[44:45]
	v_mul_f64 v[94:95], v[134:135], v[42:43]
	;; [unrolled: 1-line block ×3, first 2 shown]
	v_fma_f64 v[28:29], v[120:121], v[30:31], v[72:73]
	v_fma_f64 v[30:31], v[120:121], v[32:33], -v[78:79]
	v_fma_f64 v[32:33], v[136:137], v[34:35], v[80:81]
	v_fma_f64 v[34:35], v[136:137], v[36:37], -v[86:87]
	;; [unrolled: 2-line block ×4, first 2 shown]
	v_add_f64 v[44:45], v[0:1], v[102:103]
	v_mul_f64 v[102:103], v[38:39], s[16:17]
	v_mul_f64 v[38:39], v[38:39], s[44:45]
	v_add_f64 v[70:71], v[58:59], v[12:13]
	v_mul_f64 v[120:121], v[50:51], s[28:29]
	v_mul_f64 v[126:127], v[52:53], s[44:45]
	;; [unrolled: 1-line block ×5, first 2 shown]
	v_add_f64 v[68:69], v[56:57], v[14:15]
	v_add_f64 v[72:73], v[56:57], -v[14:15]
	v_mul_f64 v[136:137], v[74:75], s[20:21]
	v_fma_f64 v[206:207], v[66:67], s[34:35], v[122:123]
	v_fma_f64 v[122:123], v[66:67], s[28:29], v[122:123]
	;; [unrolled: 1-line block ×4, first 2 shown]
	v_mul_f64 v[74:75], v[74:75], s[26:27]
	v_fma_f64 v[134:135], v[66:67], s[24:25], v[134:135]
	v_fma_f64 v[128:129], v[64:65], s[38:39], -v[128:129]
	v_add_f64 v[84:85], v[32:33], v[22:23]
	v_add_f64 v[86:87], v[34:35], v[20:21]
	;; [unrolled: 1-line block ×4, first 2 shown]
	v_add_f64 v[80:81], v[28:29], -v[18:19]
	v_add_f64 v[82:83], v[30:31], -v[16:17]
	v_add_f64 v[44:45], v[44:45], v[54:55]
	v_add_f64 v[30:31], v[40:41], v[30:31]
	v_fma_f64 v[190:191], v[62:63], s[18:19], v[102:103]
	v_fma_f64 v[102:103], v[62:63], s[2:3], v[102:103]
	;; [unrolled: 1-line block ×4, first 2 shown]
	v_fma_f64 v[48:49], v[60:61], s[44:45], -v[48:49]
	v_fma_f64 v[38:39], v[62:63], s[42:43], v[38:39]
	v_mul_f64 v[138:139], v[70:71], s[22:23]
	v_mul_f64 v[142:143], v[70:71], s[44:45]
	v_fma_f64 v[204:205], v[64:65], s[30:31], v[120:121]
	v_mul_f64 v[146:147], v[70:71], s[30:31]
	v_fma_f64 v[120:121], v[64:65], s[30:31], -v[120:121]
	v_fma_f64 v[210:211], v[66:67], s[36:37], v[126:127]
	v_mul_f64 v[150:151], v[70:71], s[10:11]
	v_fma_f64 v[126:127], v[66:67], s[42:43], v[126:127]
	v_fma_f64 v[216:217], v[64:65], s[22:23], v[132:133]
	v_fma_f64 v[132:133], v[64:65], s[22:23], -v[132:133]
	v_fma_f64 v[220:221], v[64:65], s[10:11], v[50:51]
	v_fma_f64 v[222:223], v[66:67], s[8:9], v[52:53]
	v_fma_f64 v[50:51], v[64:65], s[10:11], -v[50:51]
	v_fma_f64 v[52:53], v[66:67], s[0:1], v[52:53]
	v_add_f64 v[92:93], v[36:37], v[26:27]
	v_add_f64 v[54:55], v[42:43], v[24:25]
	v_add_f64 v[94:95], v[36:37], -v[26:27]
	v_add_f64 v[96:97], v[42:43], -v[24:25]
	;; [unrolled: 1-line block ×4, first 2 shown]
	v_fma_f64 v[228:229], v[68:69], s[10:11], v[148:149]
	v_add_f64 v[196:197], v[212:213], v[196:197]
	v_fma_f64 v[232:233], v[68:69], s[16:17], v[152:153]
	v_add_f64 v[200:201], v[218:219], v[200:201]
	v_fma_f64 v[152:153], v[68:69], s[16:17], -v[152:153]
	v_fma_f64 v[236:237], v[68:69], s[38:39], v[74:75]
	v_fma_f64 v[148:149], v[68:69], s[10:11], -v[148:149]
	v_mul_f64 v[158:159], v[78:79], s[38:39]
	v_mul_f64 v[162:163], v[78:79], s[10:11]
	;; [unrolled: 1-line block ×3, first 2 shown]
	v_add_f64 v[44:45], v[44:45], v[56:57]
	v_add_f64 v[30:31], v[30:31], v[34:35]
	;; [unrolled: 1-line block ×4, first 2 shown]
	v_mul_f64 v[56:57], v[70:71], s[16:17]
	v_mul_f64 v[70:71], v[70:71], s[38:39]
	v_add_f64 v[40:41], v[0:1], v[40:41]
	v_add_f64 v[202:203], v[2:3], v[202:203]
	v_mul_f64 v[58:59], v[82:83], s[40:41]
	v_fma_f64 v[224:225], v[72:73], s[36:37], v[142:143]
	v_add_f64 v[188:189], v[204:205], v[188:189]
	v_mul_f64 v[160:161], v[82:83], s[0:1]
	v_fma_f64 v[34:35], v[68:69], s[30:31], v[144:145]
	v_fma_f64 v[226:227], v[72:73], s[28:29], v[146:147]
	v_add_f64 v[100:101], v[120:121], v[100:101]
	v_add_f64 v[194:195], v[210:211], v[194:195]
	v_mul_f64 v[156:157], v[78:79], s[30:31]
	v_mul_f64 v[164:165], v[82:83], s[20:21]
	;; [unrolled: 1-line block ×7, first 2 shown]
	v_fma_f64 v[142:143], v[72:73], s[42:43], v[142:143]
	v_fma_f64 v[144:145], v[68:69], s[30:31], -v[144:145]
	v_fma_f64 v[146:147], v[72:73], s[34:35], v[146:147]
	v_fma_f64 v[230:231], v[72:73], s[8:9], v[150:151]
	v_add_f64 v[106:107], v[126:127], v[106:107]
	v_fma_f64 v[150:151], v[72:73], s[0:1], v[150:151]
	v_add_f64 v[108:109], v[128:129], v[108:109]
	v_mul_f64 v[176:177], v[90:91], s[24:25]
	v_mul_f64 v[178:179], v[86:87], s[22:23]
	;; [unrolled: 1-line block ×5, first 2 shown]
	v_fma_f64 v[242:243], v[80:81], s[26:27], v[158:159]
	v_fma_f64 v[246:247], v[80:81], s[8:9], v[162:163]
	;; [unrolled: 1-line block ×3, first 2 shown]
	v_add_f64 v[28:29], v[44:45], v[28:29]
	v_fma_f64 v[44:45], v[62:63], s[28:29], v[110:111]
	v_fma_f64 v[110:111], v[60:61], s[38:39], v[112:113]
	v_fma_f64 v[112:113], v[60:61], s[38:39], -v[112:113]
	v_add_f64 v[30:31], v[30:31], v[42:43]
	v_fma_f64 v[60:61], v[64:65], s[16:17], v[116:117]
	v_fma_f64 v[62:63], v[66:67], s[18:19], v[118:119]
	;; [unrolled: 1-line block ×3, first 2 shown]
	v_fma_f64 v[116:117], v[64:65], s[16:17], -v[116:117]
	v_fma_f64 v[64:65], v[68:69], s[22:23], v[136:137]
	v_fma_f64 v[66:67], v[72:73], s[24:25], v[138:139]
	v_add_f64 v[190:191], v[206:207], v[190:191]
	v_fma_f64 v[136:137], v[68:69], s[22:23], -v[136:137]
	v_add_f64 v[102:103], v[122:123], v[102:103]
	v_fma_f64 v[234:235], v[72:73], s[18:19], v[56:57]
	v_fma_f64 v[238:239], v[72:73], s[40:41], v[70:71]
	v_add_f64 v[40:41], v[220:221], v[40:41]
	v_fma_f64 v[70:71], v[72:73], s[26:27], v[70:71]
	v_fma_f64 v[56:57], v[72:73], s[2:3], v[56:57]
	v_fma_f64 v[240:241], v[76:77], s[38:39], v[58:59]
	v_fma_f64 v[58:59], v[76:77], s[38:39], -v[58:59]
	v_fma_f64 v[244:245], v[76:77], s[10:11], v[160:161]
	v_add_f64 v[34:35], v[34:35], v[192:193]
	v_fma_f64 v[160:161], v[76:77], s[10:11], -v[160:161]
	v_fma_f64 v[162:163], v[80:81], s[0:1], v[162:163]
	v_fma_f64 v[248:249], v[76:77], s[22:23], v[164:165]
	v_fma_f64 v[164:165], v[76:77], s[22:23], -v[164:165]
	v_fma_f64 v[42:43], v[76:77], s[44:45], v[168:169]
	v_add_f64 v[104:105], v[144:145], v[104:105]
	v_add_f64 v[106:107], v[146:147], v[106:107]
	v_mul_f64 v[174:175], v[86:87], s[38:39]
	v_add_f64 v[108:109], v[148:149], v[108:109]
	v_mul_f64 v[120:121], v[54:55], s[10:11]
	v_fma_f64 v[128:129], v[84:85], s[22:23], v[176:177]
	v_mul_f64 v[122:123], v[54:55], s[38:39]
	v_mul_f64 v[208:209], v[96:97], s[18:19]
	v_mul_f64 v[210:211], v[54:55], s[16:17]
	v_fma_f64 v[176:177], v[84:85], s[22:23], -v[176:177]
	v_add_f64 v[28:29], v[28:29], v[32:33]
	v_add_f64 v[44:45], v[2:3], v[44:45]
	;; [unrolled: 1-line block ×7, first 2 shown]
	v_fma_f64 v[32:33], v[72:73], s[20:21], v[138:139]
	v_fma_f64 v[138:139], v[68:69], s[44:45], v[140:141]
	v_add_f64 v[60:61], v[60:61], v[184:185]
	v_add_f64 v[98:99], v[118:119], v[98:99]
	v_fma_f64 v[140:141], v[68:69], s[44:45], -v[140:141]
	v_add_f64 v[46:47], v[116:117], v[46:47]
	v_fma_f64 v[68:69], v[68:69], s[38:39], -v[74:75]
	v_add_f64 v[62:63], v[62:63], v[186:187]
	v_fma_f64 v[72:73], v[76:77], s[30:31], v[154:155]
	v_fma_f64 v[74:75], v[80:81], s[34:35], v[156:157]
	v_fma_f64 v[154:155], v[76:77], s[30:31], -v[154:155]
	v_fma_f64 v[156:157], v[80:81], s[28:29], v[156:157]
	v_fma_f64 v[38:39], v[80:81], s[42:43], v[170:171]
	v_fma_f64 v[48:49], v[76:77], s[44:45], -v[168:169]
	;; [unrolled: 3-line block ×3, first 2 shown]
	v_fma_f64 v[82:83], v[80:81], s[2:3], v[78:79]
	v_fma_f64 v[78:79], v[80:81], s[18:19], v[78:79]
	v_mul_f64 v[184:185], v[86:87], s[44:45]
	v_add_f64 v[102:103], v[142:143], v[102:103]
	v_mul_f64 v[116:117], v[90:91], s[0:1]
	v_mul_f64 v[118:119], v[86:87], s[10:11]
	v_add_f64 v[142:143], v[234:235], v[200:201]
	v_mul_f64 v[86:87], v[86:87], s[30:31]
	v_add_f64 v[40:41], v[236:237], v[40:41]
	;; [unrolled: 2-line block ×3, first 2 shown]
	v_mul_f64 v[124:125], v[96:97], s[28:29]
	v_mul_f64 v[126:127], v[54:55], s[30:31]
	;; [unrolled: 1-line block ×3, first 2 shown]
	v_add_f64 v[28:29], v[28:29], v[36:37]
	v_add_f64 v[44:45], v[130:131], v[44:45]
	;; [unrolled: 1-line block ×16, first 2 shown]
	v_fma_f64 v[36:37], v[80:81], s[24:25], v[166:167]
	v_fma_f64 v[166:167], v[80:81], s[20:21], v[166:167]
	v_mul_f64 v[80:81], v[90:91], s[36:37]
	v_add_f64 v[138:139], v[228:229], v[196:197]
	v_add_f64 v[140:141], v[230:231], v[198:199]
	v_mul_f64 v[90:91], v[90:91], s[28:29]
	v_add_f64 v[62:63], v[66:67], v[62:63]
	v_fma_f64 v[130:131], v[88:89], s[20:21], v[178:179]
	v_fma_f64 v[216:217], v[84:85], s[16:17], v[180:181]
	v_fma_f64 v[52:53], v[84:85], s[16:17], -v[180:181]
	v_fma_f64 v[134:135], v[88:89], s[42:43], v[184:185]
	v_fma_f64 v[24:25], v[88:89], s[2:3], v[182:183]
	;; [unrolled: 1-line block ×4, first 2 shown]
	v_add_f64 v[38:39], v[38:39], v[142:143]
	v_mul_f64 v[206:207], v[54:55], s[44:45]
	v_mul_f64 v[54:55], v[54:55], s[22:23]
	v_fma_f64 v[212:213], v[84:85], s[38:39], v[172:173]
	v_fma_f64 v[172:173], v[84:85], s[38:39], -v[172:173]
	v_add_f64 v[40:41], v[170:171], v[40:41]
	v_fma_f64 v[178:179], v[88:89], s[24:25], v[178:179]
	v_fma_f64 v[118:119], v[88:89], s[0:1], v[118:119]
	v_add_f64 v[26:27], v[28:29], v[26:27]
	v_add_f64 v[44:45], v[150:151], v[44:45]
	;; [unrolled: 1-line block ×9, first 2 shown]
	v_mul_f64 v[28:29], v[96:97], s[0:1]
	v_add_f64 v[60:61], v[72:73], v[60:61]
	v_add_f64 v[64:65], v[240:241], v[64:65]
	;; [unrolled: 1-line block ×8, first 2 shown]
	v_fma_f64 v[114:115], v[84:85], s[44:45], v[80:81]
	v_add_f64 v[106:107], v[248:249], v[138:139]
	v_add_f64 v[36:37], v[36:37], v[140:141]
	v_mul_f64 v[96:97], v[96:97], s[24:25]
	v_fma_f64 v[186:187], v[84:85], s[30:31], v[90:91]
	v_add_f64 v[46:47], v[154:155], v[46:47]
	v_fma_f64 v[56:57], v[84:85], s[30:31], -v[90:91]
	v_fma_f64 v[20:21], v[88:89], s[28:29], v[86:87]
	v_fma_f64 v[214:215], v[88:89], s[40:41], v[174:175]
	;; [unrolled: 1-line block ×3, first 2 shown]
	v_fma_f64 v[80:81], v[84:85], s[44:45], -v[80:81]
	v_add_f64 v[32:33], v[156:157], v[32:33]
	v_add_f64 v[108:109], v[164:165], v[108:109]
	v_fma_f64 v[90:91], v[94:95], s[40:41], v[122:123]
	v_add_f64 v[34:35], v[216:217], v[34:35]
	v_add_f64 v[38:39], v[184:185], v[38:39]
	v_fma_f64 v[68:69], v[92:93], s[44:45], -v[204:205]
	v_fma_f64 v[66:67], v[92:93], s[44:45], v[204:205]
	v_fma_f64 v[70:71], v[94:95], s[42:43], v[206:207]
	v_add_f64 v[22:23], v[26:27], v[22:23]
	v_fma_f64 v[26:27], v[88:89], s[18:19], v[182:183]
	v_fma_f64 v[182:183], v[84:85], s[10:11], v[116:117]
	v_add_f64 v[42:43], v[42:43], v[110:111]
	v_fma_f64 v[116:117], v[84:85], s[10:11], -v[116:117]
	v_add_f64 v[44:45], v[166:167], v[44:45]
	v_add_f64 v[48:49], v[48:49], v[112:113]
	;; [unrolled: 1-line block ×8, first 2 shown]
	v_fma_f64 v[84:85], v[92:93], s[10:11], v[28:29]
	v_add_f64 v[64:65], v[128:129], v[64:65]
	v_add_f64 v[72:73], v[130:131], v[72:73]
	v_fma_f64 v[28:29], v[92:93], s[10:11], -v[28:29]
	v_fma_f64 v[76:77], v[94:95], s[2:3], v[210:211]
	v_add_f64 v[58:59], v[176:177], v[58:59]
	v_add_f64 v[52:53], v[52:53], v[102:103]
	;; [unrolled: 1-line block ×3, first 2 shown]
	v_fma_f64 v[74:75], v[92:93], s[30:31], v[124:125]
	v_fma_f64 v[110:111], v[94:95], s[34:35], v[126:127]
	v_fma_f64 v[112:113], v[92:93], s[30:31], -v[124:125]
	v_fma_f64 v[124:125], v[94:95], s[28:29], v[126:127]
	v_fma_f64 v[126:127], v[92:93], s[22:23], v[96:97]
	;; [unrolled: 1-line block ×3, first 2 shown]
	v_add_f64 v[46:47], v[172:173], v[46:47]
	v_fma_f64 v[78:79], v[92:93], s[16:17], -v[208:209]
	v_fma_f64 v[54:55], v[94:95], s[24:25], v[54:55]
	v_fma_f64 v[62:63], v[94:95], s[18:19], v[210:211]
	v_add_f64 v[32:33], v[174:175], v[32:33]
	v_add_f64 v[80:81], v[80:81], v[108:109]
	v_fma_f64 v[108:109], v[94:95], s[26:27], v[122:123]
	v_add_f64 v[60:61], v[212:213], v[60:61]
	v_add_f64 v[18:19], v[22:23], v[18:19]
	v_fma_f64 v[22:23], v[88:89], s[34:35], v[86:87]
	v_fma_f64 v[86:87], v[94:95], s[8:9], v[120:121]
	;; [unrolled: 1-line block ×3, first 2 shown]
	v_add_f64 v[26:27], v[26:27], v[100:101]
	v_fma_f64 v[30:31], v[92:93], s[38:39], -v[30:31]
	v_add_f64 v[100:101], v[114:115], v[106:107]
	v_add_f64 v[42:43], v[182:183], v[42:43]
	;; [unrolled: 1-line block ×7, first 2 shown]
	v_fma_f64 v[114:115], v[94:95], s[0:1], v[120:121]
	v_add_f64 v[116:117], v[12:13], v[8:9]
	v_fma_f64 v[94:95], v[94:95], s[36:37], v[206:207]
	v_add_f64 v[12:13], v[84:85], v[64:65]
	v_add_f64 v[38:39], v[110:111], v[38:39]
	v_add_f64 v[8:9], v[68:69], v[46:47]
	v_add_f64 v[0:1], v[66:67], v[60:61]
	v_add_f64 v[14:15], v[18:19], v[14:15]
	v_fma_f64 v[18:19], v[92:93], s[16:17], v[208:209]
	v_add_f64 v[82:83], v[22:23], v[82:83]
	v_fma_f64 v[92:93], v[92:93], s[22:23], -v[96:97]
	v_add_f64 v[96:97], v[178:179], v[98:99]
	v_add_f64 v[98:99], v[24:25], v[104:105]
	;; [unrolled: 1-line block ×27, first 2 shown]
	ds_store_b128 v255, v[12:15] offset:3808
	ds_store_b128 v255, v[20:23] offset:5712
	;; [unrolled: 1-line block ×11, first 2 shown]
	ds_store_b128 v255, v[52:55]
	ds_store_b128 v255, v[0:3] offset:1904
	s_waitcnt lgkmcnt(0)
	s_barrier
	buffer_gl0_inv
	s_and_b32 exec_lo, exec_lo, vcc_lo
	s_cbranch_execz .LBB0_23
; %bb.22:
	global_load_b128 v[0:3], v255, s[12:13]
	ds_load_b128 v[4:7], v255
	ds_load_b128 v[8:11], v255 offset:1456
	ds_load_b128 v[12:15], v255 offset:23296
	s_mov_b32 s0, 0x152e8015
	s_mov_b32 s1, 0x3f452e80
	s_mul_i32 s2, s5, 0x5b0
	s_mul_hi_u32 s3, s4, 0x5b0
	scratch_load_b32 v20, off, off offset:8 ; 4-byte Folded Reload
	s_add_i32 s3, s3, s2
	v_add_co_u32 v22, s2, s12, v255
	s_delay_alu instid0(VALU_DEP_1) | instskip(SKIP_3) | instid1(VALU_DEP_2)
	v_add_co_ci_u32_e64 v23, null, s13, 0, s2
	s_waitcnt vmcnt(1) lgkmcnt(2)
	v_mul_f64 v[16:17], v[6:7], v[2:3]
	v_mul_f64 v[2:3], v[4:5], v[2:3]
	v_fma_f64 v[4:5], v[4:5], v[0:1], v[16:17]
	s_delay_alu instid0(VALU_DEP_2)
	v_fma_f64 v[2:3], v[0:1], v[6:7], -v[2:3]
	scratch_load_b64 v[0:1], off, off       ; 8-byte Folded Reload
	s_waitcnt vmcnt(1)
	v_mad_u64_u32 v[16:17], null, s4, v20, 0
	s_mulk_i32 s4, 0x5b0
	v_mul_f64 v[2:3], v[2:3], s[0:1]
	s_waitcnt vmcnt(0)
	v_mov_b32_e32 v19, v0
	v_mul_f64 v[0:1], v[4:5], s[0:1]
	s_delay_alu instid0(VALU_DEP_4) | instskip(NEXT) | instid1(VALU_DEP_3)
	v_mov_b32_e32 v5, v17
	v_mad_u64_u32 v[6:7], null, s6, v19, 0
	s_delay_alu instid0(VALU_DEP_1) | instskip(NEXT) | instid1(VALU_DEP_1)
	v_mov_b32_e32 v4, v7
	v_mad_u64_u32 v[17:18], null, s7, v19, v[4:5]
	s_delay_alu instid0(VALU_DEP_3) | instskip(NEXT) | instid1(VALU_DEP_2)
	v_mad_u64_u32 v[18:19], null, s5, v20, v[5:6]
	v_mov_b32_e32 v7, v17
	s_delay_alu instid0(VALU_DEP_2) | instskip(NEXT) | instid1(VALU_DEP_2)
	v_mov_b32_e32 v17, v18
	v_lshlrev_b64 v[4:5], 4, v[6:7]
	s_delay_alu instid0(VALU_DEP_2) | instskip(NEXT) | instid1(VALU_DEP_2)
	v_lshlrev_b64 v[6:7], 4, v[16:17]
	v_add_co_u32 v4, vcc_lo, s14, v4
	s_delay_alu instid0(VALU_DEP_3) | instskip(NEXT) | instid1(VALU_DEP_2)
	v_add_co_ci_u32_e32 v5, vcc_lo, s15, v5, vcc_lo
	v_add_co_u32 v4, vcc_lo, v4, v6
	s_delay_alu instid0(VALU_DEP_2) | instskip(NEXT) | instid1(VALU_DEP_2)
	v_add_co_ci_u32_e32 v5, vcc_lo, v5, v7, vcc_lo
	v_add_co_u32 v16, vcc_lo, v4, s4
	global_store_b128 v[4:5], v[0:3], off
	global_load_b128 v[0:3], v255, s[12:13] offset:1456
	v_add_co_ci_u32_e32 v17, vcc_lo, s3, v5, vcc_lo
	s_waitcnt vmcnt(0) lgkmcnt(1)
	v_mul_f64 v[6:7], v[10:11], v[2:3]
	v_mul_f64 v[2:3], v[8:9], v[2:3]
	s_delay_alu instid0(VALU_DEP_2) | instskip(NEXT) | instid1(VALU_DEP_2)
	v_fma_f64 v[6:7], v[8:9], v[0:1], v[6:7]
	v_fma_f64 v[2:3], v[0:1], v[10:11], -v[2:3]
	s_delay_alu instid0(VALU_DEP_2) | instskip(NEXT) | instid1(VALU_DEP_2)
	v_mul_f64 v[0:1], v[6:7], s[0:1]
	v_mul_f64 v[2:3], v[2:3], s[0:1]
	global_store_b128 v[16:17], v[0:3], off
	global_load_b128 v[0:3], v255, s[12:13] offset:2912
	ds_load_b128 v[4:7], v255 offset:2912
	ds_load_b128 v[8:11], v255 offset:4368
	s_waitcnt vmcnt(0) lgkmcnt(1)
	v_mul_f64 v[18:19], v[6:7], v[2:3]
	v_mul_f64 v[2:3], v[4:5], v[2:3]
	s_delay_alu instid0(VALU_DEP_2) | instskip(NEXT) | instid1(VALU_DEP_2)
	v_fma_f64 v[4:5], v[4:5], v[0:1], v[18:19]
	v_fma_f64 v[2:3], v[0:1], v[6:7], -v[2:3]
	s_delay_alu instid0(VALU_DEP_2) | instskip(NEXT) | instid1(VALU_DEP_2)
	v_mul_f64 v[0:1], v[4:5], s[0:1]
	v_mul_f64 v[2:3], v[2:3], s[0:1]
	v_add_co_u32 v4, vcc_lo, v16, s4
	v_add_co_ci_u32_e32 v5, vcc_lo, s3, v17, vcc_lo
	v_add_co_u32 v16, vcc_lo, 0x1000, v22
	v_add_co_ci_u32_e32 v17, vcc_lo, 0, v23, vcc_lo
	s_delay_alu instid0(VALU_DEP_4) | instskip(NEXT) | instid1(VALU_DEP_4)
	v_add_co_u32 v18, vcc_lo, v4, s4
	v_add_co_ci_u32_e32 v19, vcc_lo, s3, v5, vcc_lo
	global_store_b128 v[4:5], v[0:3], off
	global_load_b128 v[0:3], v[16:17], off offset:272
	s_waitcnt vmcnt(0) lgkmcnt(0)
	v_mul_f64 v[6:7], v[10:11], v[2:3]
	v_mul_f64 v[2:3], v[8:9], v[2:3]
	s_delay_alu instid0(VALU_DEP_2) | instskip(NEXT) | instid1(VALU_DEP_2)
	v_fma_f64 v[6:7], v[8:9], v[0:1], v[6:7]
	v_fma_f64 v[2:3], v[0:1], v[10:11], -v[2:3]
	s_delay_alu instid0(VALU_DEP_2) | instskip(NEXT) | instid1(VALU_DEP_2)
	v_mul_f64 v[0:1], v[6:7], s[0:1]
	v_mul_f64 v[2:3], v[2:3], s[0:1]
	global_store_b128 v[18:19], v[0:3], off
	global_load_b128 v[0:3], v[16:17], off offset:1728
	ds_load_b128 v[4:7], v255 offset:5824
	ds_load_b128 v[8:11], v255 offset:7280
	s_waitcnt vmcnt(0) lgkmcnt(1)
	v_mul_f64 v[20:21], v[6:7], v[2:3]
	v_mul_f64 v[2:3], v[4:5], v[2:3]
	s_delay_alu instid0(VALU_DEP_2) | instskip(NEXT) | instid1(VALU_DEP_2)
	v_fma_f64 v[4:5], v[4:5], v[0:1], v[20:21]
	v_fma_f64 v[2:3], v[0:1], v[6:7], -v[2:3]
	s_delay_alu instid0(VALU_DEP_2) | instskip(NEXT) | instid1(VALU_DEP_2)
	v_mul_f64 v[0:1], v[4:5], s[0:1]
	v_mul_f64 v[2:3], v[2:3], s[0:1]
	v_add_co_u32 v4, vcc_lo, v18, s4
	v_add_co_ci_u32_e32 v5, vcc_lo, s3, v19, vcc_lo
	global_store_b128 v[4:5], v[0:3], off
	global_load_b128 v[0:3], v[16:17], off offset:3184
	v_add_co_u32 v16, vcc_lo, v4, s4
	v_add_co_ci_u32_e32 v17, vcc_lo, s3, v5, vcc_lo
	v_add_co_u32 v18, vcc_lo, 0x2000, v22
	v_add_co_ci_u32_e32 v19, vcc_lo, 0, v23, vcc_lo
	s_waitcnt vmcnt(0) lgkmcnt(0)
	v_mul_f64 v[6:7], v[10:11], v[2:3]
	v_mul_f64 v[2:3], v[8:9], v[2:3]
	s_delay_alu instid0(VALU_DEP_2) | instskip(NEXT) | instid1(VALU_DEP_2)
	v_fma_f64 v[6:7], v[8:9], v[0:1], v[6:7]
	v_fma_f64 v[2:3], v[0:1], v[10:11], -v[2:3]
	s_delay_alu instid0(VALU_DEP_2) | instskip(NEXT) | instid1(VALU_DEP_2)
	v_mul_f64 v[0:1], v[6:7], s[0:1]
	v_mul_f64 v[2:3], v[2:3], s[0:1]
	global_store_b128 v[16:17], v[0:3], off
	global_load_b128 v[0:3], v[18:19], off offset:544
	ds_load_b128 v[4:7], v255 offset:8736
	ds_load_b128 v[8:11], v255 offset:10192
	s_waitcnt vmcnt(0) lgkmcnt(1)
	v_mul_f64 v[20:21], v[6:7], v[2:3]
	v_mul_f64 v[2:3], v[4:5], v[2:3]
	s_delay_alu instid0(VALU_DEP_2) | instskip(NEXT) | instid1(VALU_DEP_2)
	v_fma_f64 v[4:5], v[4:5], v[0:1], v[20:21]
	v_fma_f64 v[2:3], v[0:1], v[6:7], -v[2:3]
	s_delay_alu instid0(VALU_DEP_2) | instskip(NEXT) | instid1(VALU_DEP_2)
	v_mul_f64 v[0:1], v[4:5], s[0:1]
	v_mul_f64 v[2:3], v[2:3], s[0:1]
	v_add_co_u32 v4, vcc_lo, v16, s4
	v_add_co_ci_u32_e32 v5, vcc_lo, s3, v17, vcc_lo
	s_delay_alu instid0(VALU_DEP_2) | instskip(NEXT) | instid1(VALU_DEP_2)
	v_add_co_u32 v16, vcc_lo, v4, s4
	v_add_co_ci_u32_e32 v17, vcc_lo, s3, v5, vcc_lo
	global_store_b128 v[4:5], v[0:3], off
	global_load_b128 v[0:3], v[18:19], off offset:2000
	s_waitcnt vmcnt(0) lgkmcnt(0)
	v_mul_f64 v[6:7], v[10:11], v[2:3]
	v_mul_f64 v[2:3], v[8:9], v[2:3]
	s_delay_alu instid0(VALU_DEP_2) | instskip(NEXT) | instid1(VALU_DEP_2)
	v_fma_f64 v[6:7], v[8:9], v[0:1], v[6:7]
	v_fma_f64 v[2:3], v[0:1], v[10:11], -v[2:3]
	s_delay_alu instid0(VALU_DEP_2) | instskip(NEXT) | instid1(VALU_DEP_2)
	v_mul_f64 v[0:1], v[6:7], s[0:1]
	v_mul_f64 v[2:3], v[2:3], s[0:1]
	global_store_b128 v[16:17], v[0:3], off
	global_load_b128 v[0:3], v[18:19], off offset:3456
	ds_load_b128 v[4:7], v255 offset:11648
	ds_load_b128 v[8:11], v255 offset:13104
	s_waitcnt vmcnt(0) lgkmcnt(1)
	v_mul_f64 v[18:19], v[6:7], v[2:3]
	v_mul_f64 v[2:3], v[4:5], v[2:3]
	s_delay_alu instid0(VALU_DEP_2) | instskip(NEXT) | instid1(VALU_DEP_2)
	v_fma_f64 v[4:5], v[4:5], v[0:1], v[18:19]
	v_fma_f64 v[2:3], v[0:1], v[6:7], -v[2:3]
	s_delay_alu instid0(VALU_DEP_2) | instskip(NEXT) | instid1(VALU_DEP_2)
	v_mul_f64 v[0:1], v[4:5], s[0:1]
	v_mul_f64 v[2:3], v[2:3], s[0:1]
	v_add_co_u32 v4, vcc_lo, v16, s4
	v_add_co_ci_u32_e32 v5, vcc_lo, s3, v17, vcc_lo
	v_add_co_u32 v16, vcc_lo, 0x3000, v22
	v_add_co_ci_u32_e32 v17, vcc_lo, 0, v23, vcc_lo
	s_delay_alu instid0(VALU_DEP_4) | instskip(NEXT) | instid1(VALU_DEP_4)
	v_add_co_u32 v18, vcc_lo, v4, s4
	v_add_co_ci_u32_e32 v19, vcc_lo, s3, v5, vcc_lo
	global_store_b128 v[4:5], v[0:3], off
	global_load_b128 v[0:3], v[16:17], off offset:816
	s_waitcnt vmcnt(0) lgkmcnt(0)
	v_mul_f64 v[6:7], v[10:11], v[2:3]
	v_mul_f64 v[2:3], v[8:9], v[2:3]
	s_delay_alu instid0(VALU_DEP_2) | instskip(NEXT) | instid1(VALU_DEP_2)
	v_fma_f64 v[6:7], v[8:9], v[0:1], v[6:7]
	v_fma_f64 v[2:3], v[0:1], v[10:11], -v[2:3]
	s_delay_alu instid0(VALU_DEP_2) | instskip(NEXT) | instid1(VALU_DEP_2)
	v_mul_f64 v[0:1], v[6:7], s[0:1]
	v_mul_f64 v[2:3], v[2:3], s[0:1]
	global_store_b128 v[18:19], v[0:3], off
	global_load_b128 v[0:3], v[16:17], off offset:2272
	ds_load_b128 v[4:7], v255 offset:14560
	ds_load_b128 v[8:11], v255 offset:16016
	s_waitcnt vmcnt(0) lgkmcnt(1)
	v_mul_f64 v[20:21], v[6:7], v[2:3]
	v_mul_f64 v[2:3], v[4:5], v[2:3]
	s_delay_alu instid0(VALU_DEP_2) | instskip(NEXT) | instid1(VALU_DEP_2)
	v_fma_f64 v[4:5], v[4:5], v[0:1], v[20:21]
	v_fma_f64 v[2:3], v[0:1], v[6:7], -v[2:3]
	s_delay_alu instid0(VALU_DEP_2) | instskip(NEXT) | instid1(VALU_DEP_2)
	v_mul_f64 v[0:1], v[4:5], s[0:1]
	v_mul_f64 v[2:3], v[2:3], s[0:1]
	v_add_co_u32 v4, vcc_lo, v18, s4
	v_add_co_ci_u32_e32 v5, vcc_lo, s3, v19, vcc_lo
	global_store_b128 v[4:5], v[0:3], off
	global_load_b128 v[0:3], v[16:17], off offset:3728
	v_add_co_u32 v16, vcc_lo, v4, s4
	v_add_co_ci_u32_e32 v17, vcc_lo, s3, v5, vcc_lo
	v_add_co_u32 v18, vcc_lo, 0x4000, v22
	v_add_co_ci_u32_e32 v19, vcc_lo, 0, v23, vcc_lo
	s_waitcnt vmcnt(0) lgkmcnt(0)
	v_mul_f64 v[6:7], v[10:11], v[2:3]
	v_mul_f64 v[2:3], v[8:9], v[2:3]
	s_delay_alu instid0(VALU_DEP_2) | instskip(NEXT) | instid1(VALU_DEP_2)
	v_fma_f64 v[6:7], v[8:9], v[0:1], v[6:7]
	v_fma_f64 v[2:3], v[0:1], v[10:11], -v[2:3]
	s_delay_alu instid0(VALU_DEP_2) | instskip(NEXT) | instid1(VALU_DEP_2)
	v_mul_f64 v[0:1], v[6:7], s[0:1]
	v_mul_f64 v[2:3], v[2:3], s[0:1]
	global_store_b128 v[16:17], v[0:3], off
	global_load_b128 v[0:3], v[18:19], off offset:1088
	ds_load_b128 v[4:7], v255 offset:17472
	ds_load_b128 v[8:11], v255 offset:18928
	s_waitcnt vmcnt(0) lgkmcnt(1)
	v_mul_f64 v[20:21], v[6:7], v[2:3]
	v_mul_f64 v[2:3], v[4:5], v[2:3]
	s_delay_alu instid0(VALU_DEP_2) | instskip(NEXT) | instid1(VALU_DEP_2)
	v_fma_f64 v[4:5], v[4:5], v[0:1], v[20:21]
	v_fma_f64 v[2:3], v[0:1], v[6:7], -v[2:3]
	s_delay_alu instid0(VALU_DEP_2) | instskip(NEXT) | instid1(VALU_DEP_2)
	v_mul_f64 v[0:1], v[4:5], s[0:1]
	v_mul_f64 v[2:3], v[2:3], s[0:1]
	v_add_co_u32 v4, vcc_lo, v16, s4
	v_add_co_ci_u32_e32 v5, vcc_lo, s3, v17, vcc_lo
	s_delay_alu instid0(VALU_DEP_2) | instskip(NEXT) | instid1(VALU_DEP_2)
	v_add_co_u32 v16, vcc_lo, v4, s4
	v_add_co_ci_u32_e32 v17, vcc_lo, s3, v5, vcc_lo
	global_store_b128 v[4:5], v[0:3], off
	global_load_b128 v[0:3], v[18:19], off offset:2544
	s_waitcnt vmcnt(0) lgkmcnt(0)
	v_mul_f64 v[6:7], v[10:11], v[2:3]
	v_mul_f64 v[2:3], v[8:9], v[2:3]
	s_delay_alu instid0(VALU_DEP_2) | instskip(NEXT) | instid1(VALU_DEP_2)
	v_fma_f64 v[6:7], v[8:9], v[0:1], v[6:7]
	v_fma_f64 v[2:3], v[0:1], v[10:11], -v[2:3]
	s_delay_alu instid0(VALU_DEP_2) | instskip(NEXT) | instid1(VALU_DEP_2)
	v_mul_f64 v[0:1], v[6:7], s[0:1]
	v_mul_f64 v[2:3], v[2:3], s[0:1]
	global_store_b128 v[16:17], v[0:3], off
	global_load_b128 v[0:3], v[18:19], off offset:4000
	ds_load_b128 v[4:7], v255 offset:20384
	ds_load_b128 v[8:11], v255 offset:21840
	s_waitcnt vmcnt(0) lgkmcnt(1)
	v_mul_f64 v[18:19], v[6:7], v[2:3]
	v_mul_f64 v[2:3], v[4:5], v[2:3]
	s_delay_alu instid0(VALU_DEP_2) | instskip(NEXT) | instid1(VALU_DEP_2)
	v_fma_f64 v[4:5], v[4:5], v[0:1], v[18:19]
	v_fma_f64 v[2:3], v[0:1], v[6:7], -v[2:3]
	s_delay_alu instid0(VALU_DEP_2) | instskip(NEXT) | instid1(VALU_DEP_2)
	v_mul_f64 v[0:1], v[4:5], s[0:1]
	v_mul_f64 v[2:3], v[2:3], s[0:1]
	v_add_co_u32 v4, vcc_lo, v16, s4
	v_add_co_ci_u32_e32 v5, vcc_lo, s3, v17, vcc_lo
	v_add_co_u32 v6, vcc_lo, 0x5000, v22
	v_add_co_ci_u32_e32 v7, vcc_lo, 0, v23, vcc_lo
	global_store_b128 v[4:5], v[0:3], off
	global_load_b128 v[0:3], v[6:7], off offset:1360
	v_add_co_u32 v4, vcc_lo, v4, s4
	v_add_co_ci_u32_e32 v5, vcc_lo, s3, v5, vcc_lo
	s_waitcnt vmcnt(0) lgkmcnt(0)
	v_mul_f64 v[16:17], v[10:11], v[2:3]
	v_mul_f64 v[2:3], v[8:9], v[2:3]
	s_delay_alu instid0(VALU_DEP_2) | instskip(NEXT) | instid1(VALU_DEP_2)
	v_fma_f64 v[8:9], v[8:9], v[0:1], v[16:17]
	v_fma_f64 v[2:3], v[0:1], v[10:11], -v[2:3]
	s_delay_alu instid0(VALU_DEP_2) | instskip(NEXT) | instid1(VALU_DEP_2)
	v_mul_f64 v[0:1], v[8:9], s[0:1]
	v_mul_f64 v[2:3], v[2:3], s[0:1]
	global_store_b128 v[4:5], v[0:3], off
	global_load_b128 v[0:3], v[6:7], off offset:2816
	v_add_co_u32 v4, vcc_lo, v4, s4
	v_add_co_ci_u32_e32 v5, vcc_lo, s3, v5, vcc_lo
	s_waitcnt vmcnt(0)
	v_mul_f64 v[6:7], v[14:15], v[2:3]
	v_mul_f64 v[2:3], v[12:13], v[2:3]
	s_delay_alu instid0(VALU_DEP_2) | instskip(NEXT) | instid1(VALU_DEP_2)
	v_fma_f64 v[6:7], v[12:13], v[0:1], v[6:7]
	v_fma_f64 v[2:3], v[0:1], v[14:15], -v[2:3]
	s_delay_alu instid0(VALU_DEP_2) | instskip(NEXT) | instid1(VALU_DEP_2)
	v_mul_f64 v[0:1], v[6:7], s[0:1]
	v_mul_f64 v[2:3], v[2:3], s[0:1]
	global_store_b128 v[4:5], v[0:3], off
.LBB0_23:
	s_endpgm
	.section	.rodata,"a",@progbits
	.p2align	6, 0x0
	.amdhsa_kernel bluestein_single_fwd_len1547_dim1_dp_op_CI_CI
		.amdhsa_group_segment_fixed_size 24752
		.amdhsa_private_segment_fixed_size 596
		.amdhsa_kernarg_size 104
		.amdhsa_user_sgpr_count 15
		.amdhsa_user_sgpr_dispatch_ptr 0
		.amdhsa_user_sgpr_queue_ptr 0
		.amdhsa_user_sgpr_kernarg_segment_ptr 1
		.amdhsa_user_sgpr_dispatch_id 0
		.amdhsa_user_sgpr_private_segment_size 0
		.amdhsa_wavefront_size32 1
		.amdhsa_uses_dynamic_stack 0
		.amdhsa_enable_private_segment 1
		.amdhsa_system_sgpr_workgroup_id_x 1
		.amdhsa_system_sgpr_workgroup_id_y 0
		.amdhsa_system_sgpr_workgroup_id_z 0
		.amdhsa_system_sgpr_workgroup_info 0
		.amdhsa_system_vgpr_workitem_id 0
		.amdhsa_next_free_vgpr 256
		.amdhsa_next_free_sgpr 60
		.amdhsa_reserve_vcc 1
		.amdhsa_float_round_mode_32 0
		.amdhsa_float_round_mode_16_64 0
		.amdhsa_float_denorm_mode_32 3
		.amdhsa_float_denorm_mode_16_64 3
		.amdhsa_dx10_clamp 1
		.amdhsa_ieee_mode 1
		.amdhsa_fp16_overflow 0
		.amdhsa_workgroup_processor_mode 1
		.amdhsa_memory_ordered 1
		.amdhsa_forward_progress 0
		.amdhsa_shared_vgpr_count 0
		.amdhsa_exception_fp_ieee_invalid_op 0
		.amdhsa_exception_fp_denorm_src 0
		.amdhsa_exception_fp_ieee_div_zero 0
		.amdhsa_exception_fp_ieee_overflow 0
		.amdhsa_exception_fp_ieee_underflow 0
		.amdhsa_exception_fp_ieee_inexact 0
		.amdhsa_exception_int_div_zero 0
	.end_amdhsa_kernel
	.text
.Lfunc_end0:
	.size	bluestein_single_fwd_len1547_dim1_dp_op_CI_CI, .Lfunc_end0-bluestein_single_fwd_len1547_dim1_dp_op_CI_CI
                                        ; -- End function
	.section	.AMDGPU.csdata,"",@progbits
; Kernel info:
; codeLenInByte = 35612
; NumSgprs: 62
; NumVgprs: 256
; ScratchSize: 596
; MemoryBound: 0
; FloatMode: 240
; IeeeMode: 1
; LDSByteSize: 24752 bytes/workgroup (compile time only)
; SGPRBlocks: 7
; VGPRBlocks: 31
; NumSGPRsForWavesPerEU: 62
; NumVGPRsForWavesPerEU: 256
; Occupancy: 5
; WaveLimiterHint : 1
; COMPUTE_PGM_RSRC2:SCRATCH_EN: 1
; COMPUTE_PGM_RSRC2:USER_SGPR: 15
; COMPUTE_PGM_RSRC2:TRAP_HANDLER: 0
; COMPUTE_PGM_RSRC2:TGID_X_EN: 1
; COMPUTE_PGM_RSRC2:TGID_Y_EN: 0
; COMPUTE_PGM_RSRC2:TGID_Z_EN: 0
; COMPUTE_PGM_RSRC2:TIDIG_COMP_CNT: 0
	.text
	.p2alignl 7, 3214868480
	.fill 96, 4, 3214868480
	.type	__hip_cuid_ab7088e42aa96343,@object ; @__hip_cuid_ab7088e42aa96343
	.section	.bss,"aw",@nobits
	.globl	__hip_cuid_ab7088e42aa96343
__hip_cuid_ab7088e42aa96343:
	.byte	0                               ; 0x0
	.size	__hip_cuid_ab7088e42aa96343, 1

	.ident	"AMD clang version 19.0.0git (https://github.com/RadeonOpenCompute/llvm-project roc-6.4.0 25133 c7fe45cf4b819c5991fe208aaa96edf142730f1d)"
	.section	".note.GNU-stack","",@progbits
	.addrsig
	.addrsig_sym __hip_cuid_ab7088e42aa96343
	.amdgpu_metadata
---
amdhsa.kernels:
  - .args:
      - .actual_access:  read_only
        .address_space:  global
        .offset:         0
        .size:           8
        .value_kind:     global_buffer
      - .actual_access:  read_only
        .address_space:  global
        .offset:         8
        .size:           8
        .value_kind:     global_buffer
      - .actual_access:  read_only
        .address_space:  global
        .offset:         16
        .size:           8
        .value_kind:     global_buffer
      - .actual_access:  read_only
        .address_space:  global
        .offset:         24
        .size:           8
        .value_kind:     global_buffer
      - .actual_access:  read_only
        .address_space:  global
        .offset:         32
        .size:           8
        .value_kind:     global_buffer
      - .offset:         40
        .size:           8
        .value_kind:     by_value
      - .address_space:  global
        .offset:         48
        .size:           8
        .value_kind:     global_buffer
      - .address_space:  global
        .offset:         56
        .size:           8
        .value_kind:     global_buffer
      - .address_space:  global
        .offset:         64
        .size:           8
        .value_kind:     global_buffer
      - .address_space:  global
        .offset:         72
        .size:           8
        .value_kind:     global_buffer
      - .offset:         80
        .size:           4
        .value_kind:     by_value
      - .address_space:  global
        .offset:         88
        .size:           8
        .value_kind:     global_buffer
      - .address_space:  global
        .offset:         96
        .size:           8
        .value_kind:     global_buffer
    .group_segment_fixed_size: 24752
    .kernarg_segment_align: 8
    .kernarg_segment_size: 104
    .language:       OpenCL C
    .language_version:
      - 2
      - 0
    .max_flat_workgroup_size: 119
    .name:           bluestein_single_fwd_len1547_dim1_dp_op_CI_CI
    .private_segment_fixed_size: 596
    .sgpr_count:     62
    .sgpr_spill_count: 0
    .symbol:         bluestein_single_fwd_len1547_dim1_dp_op_CI_CI.kd
    .uniform_work_group_size: 1
    .uses_dynamic_stack: false
    .vgpr_count:     256
    .vgpr_spill_count: 236
    .wavefront_size: 32
    .workgroup_processor_mode: 1
amdhsa.target:   amdgcn-amd-amdhsa--gfx1100
amdhsa.version:
  - 1
  - 2
...

	.end_amdgpu_metadata
